;; amdgpu-corpus repo=ROCm/rocFFT kind=compiled arch=gfx906 opt=O3
	.text
	.amdgcn_target "amdgcn-amd-amdhsa--gfx906"
	.amdhsa_code_object_version 6
	.protected	fft_rtc_back_len273_factors_13_3_7_wgs_52_tpt_13_half_ip_CI_unitstride_sbrr_dirReg ; -- Begin function fft_rtc_back_len273_factors_13_3_7_wgs_52_tpt_13_half_ip_CI_unitstride_sbrr_dirReg
	.globl	fft_rtc_back_len273_factors_13_3_7_wgs_52_tpt_13_half_ip_CI_unitstride_sbrr_dirReg
	.p2align	8
	.type	fft_rtc_back_len273_factors_13_3_7_wgs_52_tpt_13_half_ip_CI_unitstride_sbrr_dirReg,@function
fft_rtc_back_len273_factors_13_3_7_wgs_52_tpt_13_half_ip_CI_unitstride_sbrr_dirReg: ; @fft_rtc_back_len273_factors_13_3_7_wgs_52_tpt_13_half_ip_CI_unitstride_sbrr_dirReg
; %bb.0:
	s_load_dwordx2 s[2:3], s[4:5], 0x50
	s_load_dwordx4 s[8:11], s[4:5], 0x0
	s_load_dwordx2 s[12:13], s[4:5], 0x18
	v_mul_u32_u24_e32 v1, 0x13b2, v0
	v_lshrrev_b32_e32 v9, 16, v1
	v_mov_b32_e32 v3, 0
	s_waitcnt lgkmcnt(0)
	v_cmp_lt_u64_e64 s[0:1], s[10:11], 2
	v_mov_b32_e32 v1, 0
	v_lshl_add_u32 v5, s6, 2, v9
	v_mov_b32_e32 v6, v3
	s_and_b64 vcc, exec, s[0:1]
	v_mov_b32_e32 v2, 0
	s_cbranch_vccnz .LBB0_8
; %bb.1:
	s_load_dwordx2 s[0:1], s[4:5], 0x10
	s_add_u32 s6, s12, 8
	s_addc_u32 s7, s13, 0
	v_mov_b32_e32 v1, 0
	v_mov_b32_e32 v2, 0
	s_waitcnt lgkmcnt(0)
	s_add_u32 s14, s0, 8
	s_addc_u32 s15, s1, 0
	s_mov_b64 s[16:17], 1
.LBB0_2:                                ; =>This Inner Loop Header: Depth=1
	s_load_dwordx2 s[18:19], s[14:15], 0x0
                                        ; implicit-def: $vgpr7_vgpr8
	s_waitcnt lgkmcnt(0)
	v_or_b32_e32 v4, s19, v6
	v_cmp_ne_u64_e32 vcc, 0, v[3:4]
	s_and_saveexec_b64 s[0:1], vcc
	s_xor_b64 s[20:21], exec, s[0:1]
	s_cbranch_execz .LBB0_4
; %bb.3:                                ;   in Loop: Header=BB0_2 Depth=1
	v_cvt_f32_u32_e32 v4, s18
	v_cvt_f32_u32_e32 v7, s19
	s_sub_u32 s0, 0, s18
	s_subb_u32 s1, 0, s19
	v_mac_f32_e32 v4, 0x4f800000, v7
	v_rcp_f32_e32 v4, v4
	v_mul_f32_e32 v4, 0x5f7ffffc, v4
	v_mul_f32_e32 v7, 0x2f800000, v4
	v_trunc_f32_e32 v7, v7
	v_mac_f32_e32 v4, 0xcf800000, v7
	v_cvt_u32_f32_e32 v7, v7
	v_cvt_u32_f32_e32 v4, v4
	v_mul_lo_u32 v8, s0, v7
	v_mul_hi_u32 v10, s0, v4
	v_mul_lo_u32 v12, s1, v4
	v_mul_lo_u32 v11, s0, v4
	v_add_u32_e32 v8, v10, v8
	v_add_u32_e32 v8, v8, v12
	v_mul_hi_u32 v10, v4, v11
	v_mul_lo_u32 v12, v4, v8
	v_mul_hi_u32 v14, v4, v8
	v_mul_hi_u32 v13, v7, v11
	v_mul_lo_u32 v11, v7, v11
	v_mul_hi_u32 v15, v7, v8
	v_add_co_u32_e32 v10, vcc, v10, v12
	v_addc_co_u32_e32 v12, vcc, 0, v14, vcc
	v_mul_lo_u32 v8, v7, v8
	v_add_co_u32_e32 v10, vcc, v10, v11
	v_addc_co_u32_e32 v10, vcc, v12, v13, vcc
	v_addc_co_u32_e32 v11, vcc, 0, v15, vcc
	v_add_co_u32_e32 v8, vcc, v10, v8
	v_addc_co_u32_e32 v10, vcc, 0, v11, vcc
	v_add_co_u32_e32 v4, vcc, v4, v8
	v_addc_co_u32_e32 v7, vcc, v7, v10, vcc
	v_mul_lo_u32 v8, s0, v7
	v_mul_hi_u32 v10, s0, v4
	v_mul_lo_u32 v11, s1, v4
	v_mul_lo_u32 v12, s0, v4
	v_add_u32_e32 v8, v10, v8
	v_add_u32_e32 v8, v8, v11
	v_mul_lo_u32 v13, v4, v8
	v_mul_hi_u32 v14, v4, v12
	v_mul_hi_u32 v15, v4, v8
	;; [unrolled: 1-line block ×3, first 2 shown]
	v_mul_lo_u32 v12, v7, v12
	v_mul_hi_u32 v10, v7, v8
	v_add_co_u32_e32 v13, vcc, v14, v13
	v_addc_co_u32_e32 v14, vcc, 0, v15, vcc
	v_mul_lo_u32 v8, v7, v8
	v_add_co_u32_e32 v12, vcc, v13, v12
	v_addc_co_u32_e32 v11, vcc, v14, v11, vcc
	v_addc_co_u32_e32 v10, vcc, 0, v10, vcc
	v_add_co_u32_e32 v8, vcc, v11, v8
	v_addc_co_u32_e32 v10, vcc, 0, v10, vcc
	v_add_co_u32_e32 v4, vcc, v4, v8
	v_addc_co_u32_e32 v10, vcc, v7, v10, vcc
	v_mad_u64_u32 v[7:8], s[0:1], v5, v10, 0
	v_mul_hi_u32 v11, v5, v4
	v_add_co_u32_e32 v12, vcc, v11, v7
	v_addc_co_u32_e32 v13, vcc, 0, v8, vcc
	v_mad_u64_u32 v[7:8], s[0:1], v6, v4, 0
	v_mad_u64_u32 v[10:11], s[0:1], v6, v10, 0
	v_add_co_u32_e32 v4, vcc, v12, v7
	v_addc_co_u32_e32 v4, vcc, v13, v8, vcc
	v_addc_co_u32_e32 v7, vcc, 0, v11, vcc
	v_add_co_u32_e32 v4, vcc, v4, v10
	v_addc_co_u32_e32 v10, vcc, 0, v7, vcc
	v_mul_lo_u32 v11, s19, v4
	v_mul_lo_u32 v12, s18, v10
	v_mad_u64_u32 v[7:8], s[0:1], s18, v4, 0
	v_add3_u32 v8, v8, v12, v11
	v_sub_u32_e32 v11, v6, v8
	v_mov_b32_e32 v12, s19
	v_sub_co_u32_e32 v7, vcc, v5, v7
	v_subb_co_u32_e64 v11, s[0:1], v11, v12, vcc
	v_subrev_co_u32_e64 v12, s[0:1], s18, v7
	v_subbrev_co_u32_e64 v11, s[0:1], 0, v11, s[0:1]
	v_cmp_le_u32_e64 s[0:1], s19, v11
	v_cndmask_b32_e64 v13, 0, -1, s[0:1]
	v_cmp_le_u32_e64 s[0:1], s18, v12
	v_cndmask_b32_e64 v12, 0, -1, s[0:1]
	v_cmp_eq_u32_e64 s[0:1], s19, v11
	v_cndmask_b32_e64 v11, v13, v12, s[0:1]
	v_add_co_u32_e64 v12, s[0:1], 2, v4
	v_addc_co_u32_e64 v13, s[0:1], 0, v10, s[0:1]
	v_add_co_u32_e64 v14, s[0:1], 1, v4
	v_addc_co_u32_e64 v15, s[0:1], 0, v10, s[0:1]
	v_subb_co_u32_e32 v8, vcc, v6, v8, vcc
	v_cmp_ne_u32_e64 s[0:1], 0, v11
	v_cmp_le_u32_e32 vcc, s19, v8
	v_cndmask_b32_e64 v11, v15, v13, s[0:1]
	v_cndmask_b32_e64 v13, 0, -1, vcc
	v_cmp_le_u32_e32 vcc, s18, v7
	v_cndmask_b32_e64 v7, 0, -1, vcc
	v_cmp_eq_u32_e32 vcc, s19, v8
	v_cndmask_b32_e32 v7, v13, v7, vcc
	v_cmp_ne_u32_e32 vcc, 0, v7
	v_cndmask_b32_e64 v7, v14, v12, s[0:1]
	v_cndmask_b32_e32 v8, v10, v11, vcc
	v_cndmask_b32_e32 v7, v4, v7, vcc
.LBB0_4:                                ;   in Loop: Header=BB0_2 Depth=1
	s_andn2_saveexec_b64 s[0:1], s[20:21]
	s_cbranch_execz .LBB0_6
; %bb.5:                                ;   in Loop: Header=BB0_2 Depth=1
	v_cvt_f32_u32_e32 v4, s18
	s_sub_i32 s20, 0, s18
	v_rcp_iflag_f32_e32 v4, v4
	v_mul_f32_e32 v4, 0x4f7ffffe, v4
	v_cvt_u32_f32_e32 v4, v4
	v_mul_lo_u32 v7, s20, v4
	v_mul_hi_u32 v7, v4, v7
	v_add_u32_e32 v4, v4, v7
	v_mul_hi_u32 v4, v5, v4
	v_mul_lo_u32 v7, v4, s18
	v_add_u32_e32 v8, 1, v4
	v_sub_u32_e32 v7, v5, v7
	v_subrev_u32_e32 v10, s18, v7
	v_cmp_le_u32_e32 vcc, s18, v7
	v_cndmask_b32_e32 v7, v7, v10, vcc
	v_cndmask_b32_e32 v4, v4, v8, vcc
	v_add_u32_e32 v8, 1, v4
	v_cmp_le_u32_e32 vcc, s18, v7
	v_cndmask_b32_e32 v7, v4, v8, vcc
	v_mov_b32_e32 v8, v3
.LBB0_6:                                ;   in Loop: Header=BB0_2 Depth=1
	s_or_b64 exec, exec, s[0:1]
	v_mul_lo_u32 v4, v8, s18
	v_mul_lo_u32 v12, v7, s19
	v_mad_u64_u32 v[10:11], s[0:1], v7, s18, 0
	s_load_dwordx2 s[0:1], s[6:7], 0x0
	s_add_u32 s16, s16, 1
	v_add3_u32 v4, v11, v12, v4
	v_sub_co_u32_e32 v5, vcc, v5, v10
	v_subb_co_u32_e32 v4, vcc, v6, v4, vcc
	s_waitcnt lgkmcnt(0)
	v_mul_lo_u32 v4, s0, v4
	v_mul_lo_u32 v6, s1, v5
	v_mad_u64_u32 v[1:2], s[0:1], s0, v5, v[1:2]
	s_addc_u32 s17, s17, 0
	s_add_u32 s6, s6, 8
	v_add3_u32 v2, v6, v2, v4
	v_mov_b32_e32 v4, s10
	v_mov_b32_e32 v5, s11
	s_addc_u32 s7, s7, 0
	v_cmp_ge_u64_e32 vcc, s[16:17], v[4:5]
	s_add_u32 s14, s14, 8
	s_addc_u32 s15, s15, 0
	s_cbranch_vccnz .LBB0_9
; %bb.7:                                ;   in Loop: Header=BB0_2 Depth=1
	v_mov_b32_e32 v5, v7
	v_mov_b32_e32 v6, v8
	s_branch .LBB0_2
.LBB0_8:
	v_mov_b32_e32 v8, v6
	v_mov_b32_e32 v7, v5
.LBB0_9:
	s_lshl_b64 s[0:1], s[10:11], 3
	s_add_u32 s0, s12, s0
	s_addc_u32 s1, s13, s1
	s_load_dwordx2 s[6:7], s[0:1], 0x0
	s_load_dwordx2 s[10:11], s[4:5], 0x20
	v_and_b32_e32 v3, 3, v9
	s_waitcnt lgkmcnt(0)
	v_mad_u64_u32 v[1:2], s[0:1], s6, v7, v[1:2]
	s_mov_b32 s0, 0x13b13b14
	v_mul_lo_u32 v4, s6, v8
	v_mul_lo_u32 v5, s7, v7
	v_mul_hi_u32 v6, v0, s0
	v_cmp_gt_u64_e32 vcc, s[10:11], v[7:8]
	v_cmp_le_u64_e64 s[0:1], s[10:11], v[7:8]
	v_add3_u32 v2, v5, v2, v4
	v_mul_u32_u24_e32 v4, 13, v6
	v_sub_u32_e32 v0, v0, v4
	v_add_u32_e32 v29, 13, v0
	s_and_saveexec_b64 s[4:5], s[0:1]
	s_xor_b64 s[0:1], exec, s[4:5]
; %bb.10:
	v_add_u32_e32 v29, 13, v0
; %bb.11:
	s_or_saveexec_b64 s[4:5], s[0:1]
	v_mul_u32_u24_e32 v4, 0x111, v3
	v_lshlrev_b64 v[2:3], 2, v[1:2]
	v_lshlrev_b32_e32 v30, 2, v4
	v_lshlrev_b32_e32 v4, 2, v0
	s_xor_b64 exec, exec, s[4:5]
	s_cbranch_execz .LBB0_13
; %bb.12:
	v_mov_b32_e32 v1, 0
	v_mov_b32_e32 v5, s3
	v_add_co_u32_e64 v7, s[0:1], s2, v2
	v_addc_co_u32_e64 v8, s[0:1], v5, v3, s[0:1]
	v_lshlrev_b64 v[5:6], 2, v[0:1]
	v_add_co_u32_e64 v5, s[0:1], v7, v5
	v_addc_co_u32_e64 v6, s[0:1], v8, v6, s[0:1]
	global_load_dword v1, v[5:6], off
	global_load_dword v7, v[5:6], off offset:52
	global_load_dword v8, v[5:6], off offset:104
	;; [unrolled: 1-line block ×20, first 2 shown]
	v_add3_u32 v5, 0, v30, v4
	s_waitcnt vmcnt(19)
	ds_write2_b32 v5, v1, v7 offset1:13
	s_waitcnt vmcnt(17)
	ds_write2_b32 v5, v8, v9 offset0:26 offset1:39
	s_waitcnt vmcnt(15)
	ds_write2_b32 v5, v10, v11 offset0:52 offset1:65
	;; [unrolled: 2-line block ×9, first 2 shown]
	s_waitcnt vmcnt(0)
	ds_write_b32 v5, v26 offset:1040
.LBB0_13:
	s_or_b64 exec, exec, s[4:5]
	v_add_u32_e32 v1, 0, v4
	v_add_u32_e32 v32, 0, v30
	v_add_u32_e32 v1, v1, v30
	s_waitcnt lgkmcnt(0)
	; wave barrier
	s_waitcnt lgkmcnt(0)
	v_add_u32_e32 v28, v32, v4
	ds_read2_b32 v[4:5], v1 offset0:13 offset1:21
	ds_read2_b32 v[20:21], v1 offset0:34 offset1:42
	;; [unrolled: 1-line block ×9, first 2 shown]
	ds_read_b32 v31, v1 offset:1060
	ds_read_b32 v33, v28
	ds_read2_b32 v[22:23], v1 offset0:202 offset1:210
	ds_read2_b32 v[24:25], v1 offset0:223 offset1:231
	;; [unrolled: 1-line block ×3, first 2 shown]
	s_mov_b32 s24, 0xb770
	s_waitcnt lgkmcnt(3)
	v_pk_add_f16 v34, v33, v5
	v_pk_add_f16 v34, v34, v21
	;; [unrolled: 1-line block ×9, first 2 shown]
	s_waitcnt lgkmcnt(2)
	v_pk_add_f16 v34, v34, v23
	s_waitcnt lgkmcnt(1)
	v_pk_add_f16 v34, v34, v25
	;; [unrolled: 2-line block ×3, first 2 shown]
	v_pk_add_f16 v34, v5, v27 neg_lo:[0,1] neg_hi:[0,1]
	v_pk_add_f16 v35, v27, v5
	v_pk_mul_f16 v27, v34, s24 op_sel_hi:[1,0]
	s_movk_i32 s12, 0x3b15
	v_pk_fma_f16 v5, v35, s12, v27 op_sel:[0,0,1] op_sel_hi:[1,0,0]
	v_pk_fma_f16 v27, v35, s12, v27 op_sel:[0,0,1] op_sel_hi:[1,0,0] neg_lo:[0,0,1] neg_hi:[0,0,1]
	s_mov_b32 s6, 0xffff
	v_bfi_b32 v36, s6, v5, v27
	s_mov_b32 s17, 0xba95
	v_pk_add_f16 v39, v33, v36
	v_mul_f16_sdwa v36, v34, s17 dst_sel:DWORD dst_unused:UNUSED_PAD src0_sel:WORD_1 src1_sel:DWORD
	s_movk_i32 s13, 0x388b
	v_fma_f16 v37, v35, s13, v36
	v_add_f16_e32 v40, v33, v37
	v_mul_f16_sdwa v37, v35, s13 dst_sel:DWORD dst_unused:UNUSED_PAD src0_sel:WORD_1 src1_sel:DWORD
	v_fma_f16 v36, v35, s13, -v36
	v_add_f16_e32 v42, v33, v36
	v_fma_f16 v36, v34, s17, v37
	s_mov_b32 s19, 0xbbf1
	s_movk_i32 s7, 0x3a95
	v_add_f16_sdwa v43, v33, v36 dst_sel:DWORD dst_unused:UNUSED_PAD src0_sel:WORD_1 src1_sel:DWORD
	v_mul_f16_sdwa v36, v34, s19 dst_sel:DWORD dst_unused:UNUSED_PAD src0_sel:WORD_1 src1_sel:DWORD
	s_movk_i32 s14, 0x2fb7
	v_fma_f16 v41, v34, s7, v37
	v_fma_f16 v37, v35, s14, v36
	v_add_f16_e32 v44, v33, v37
	v_mul_f16_sdwa v37, v35, s14 dst_sel:DWORD dst_unused:UNUSED_PAD src0_sel:WORD_1 src1_sel:DWORD
	v_fma_f16 v36, v35, s14, -v36
	v_add_f16_e32 v46, v33, v36
	v_fma_f16 v36, v34, s19, v37
	s_mov_b32 s11, 0xbb7b
	s_movk_i32 s10, 0x3bf1
	v_add_f16_sdwa v47, v33, v36 dst_sel:DWORD dst_unused:UNUSED_PAD src0_sel:WORD_1 src1_sel:DWORD
	v_mul_f16_sdwa v36, v34, s11 dst_sel:DWORD dst_unused:UNUSED_PAD src0_sel:WORD_1 src1_sel:DWORD
	s_mov_b32 s16, 0xb5ac
	v_fma_f16 v45, v34, s10, v37
	v_fma_f16 v37, v35, s16, v36
	v_add_f16_e32 v48, v33, v37
	v_mul_f16_sdwa v37, v35, s16 dst_sel:DWORD dst_unused:UNUSED_PAD src0_sel:WORD_1 src1_sel:DWORD
	v_fma_f16 v36, v35, s16, -v36
	v_add_f16_e32 v50, v33, v36
	v_fma_f16 v36, v34, s11, v37
	s_mov_b32 s15, 0xb94e
	s_movk_i32 s21, 0x3b7b
	v_add_f16_sdwa v51, v33, v36 dst_sel:DWORD dst_unused:UNUSED_PAD src0_sel:WORD_1 src1_sel:DWORD
	v_mul_f16_sdwa v36, v34, s15 dst_sel:DWORD dst_unused:UNUSED_PAD src0_sel:WORD_1 src1_sel:DWORD
	s_mov_b32 s18, 0xb9fd
	v_fma_f16 v49, v34, s21, v37
	v_fma_f16 v37, v35, s18, v36
	v_add_f16_e32 v52, v33, v37
	v_mul_f16_sdwa v37, v35, s18 dst_sel:DWORD dst_unused:UNUSED_PAD src0_sel:WORD_1 src1_sel:DWORD
	v_fma_f16 v36, v35, s18, -v36
	v_add_f16_e32 v54, v33, v36
	v_fma_f16 v36, v34, s15, v37
	s_movk_i32 s20, 0x394e
	v_add_f16_sdwa v55, v33, v36 dst_sel:DWORD dst_unused:UNUSED_PAD src0_sel:WORD_1 src1_sel:DWORD
	v_pk_add_f16 v36, v21, v25 neg_lo:[0,1] neg_hi:[0,1]
	v_fma_f16 v53, v34, s20, v37
	v_pk_add_f16 v37, v25, v21
	v_pk_mul_f16 v25, v36, s17 op_sel_hi:[1,0]
	v_pk_fma_f16 v21, v37, s13, v25 op_sel:[0,0,1] op_sel_hi:[1,0,0]
	v_pk_fma_f16 v25, v37, s13, v25 op_sel:[0,0,1] op_sel_hi:[1,0,0] neg_lo:[0,0,1] neg_hi:[0,0,1]
	v_bfi_b32 v56, s6, v21, v25
	v_pk_add_f16 v56, v56, v39
	v_mul_f16_sdwa v39, v36, s11 dst_sel:DWORD dst_unused:UNUSED_PAD src0_sel:WORD_1 src1_sel:DWORD
	v_fma_f16 v57, v37, s16, v39
	v_add_f16_e32 v57, v57, v40
	v_mul_f16_sdwa v40, v37, s16 dst_sel:DWORD dst_unused:UNUSED_PAD src0_sel:WORD_1 src1_sel:DWORD
	v_fma_f16 v39, v37, s16, -v39
	v_add_f16_e32 v42, v39, v42
	v_fma_f16 v39, v36, s11, v40
	s_mov_b32 s22, 0xb3a8
	v_add_f16_e32 v43, v39, v43
	v_mul_f16_sdwa v39, v36, s22 dst_sel:DWORD dst_unused:UNUSED_PAD src0_sel:WORD_1 src1_sel:DWORD
	s_mov_b32 s23, 0xbbc4
	v_fma_f16 v58, v36, s21, v40
	v_fma_f16 v40, v37, s23, v39
	v_add_f16_e32 v44, v40, v44
	v_mul_f16_sdwa v40, v37, s23 dst_sel:DWORD dst_unused:UNUSED_PAD src0_sel:WORD_1 src1_sel:DWORD
	v_fma_f16 v39, v37, s23, -v39
	v_add_f16_e32 v46, v39, v46
	v_fma_f16 v39, v36, s22, v40
	v_add_f16_sdwa v41, v33, v41 dst_sel:DWORD dst_unused:UNUSED_PAD src0_sel:WORD_1 src1_sel:DWORD
	s_movk_i32 s26, 0x33a8
	v_add_f16_e32 v47, v39, v47
	v_mul_f16_sdwa v39, v36, s20 dst_sel:DWORD dst_unused:UNUSED_PAD src0_sel:WORD_1 src1_sel:DWORD
	v_add_f16_e32 v41, v58, v41
	v_fma_f16 v58, v36, s26, v40
	v_fma_f16 v40, v37, s18, v39
	v_add_f16_e32 v48, v40, v48
	v_mul_f16_sdwa v40, v37, s18 dst_sel:DWORD dst_unused:UNUSED_PAD src0_sel:WORD_1 src1_sel:DWORD
	v_fma_f16 v39, v37, s18, -v39
	v_add_f16_e32 v50, v39, v50
	v_fma_f16 v39, v36, s20, v40
	v_add_f16_sdwa v45, v33, v45 dst_sel:DWORD dst_unused:UNUSED_PAD src0_sel:WORD_1 src1_sel:DWORD
	v_add_f16_e32 v51, v39, v51
	v_mul_f16_sdwa v39, v36, s10 dst_sel:DWORD dst_unused:UNUSED_PAD src0_sel:WORD_1 src1_sel:DWORD
	v_add_f16_e32 v45, v58, v45
	v_fma_f16 v58, v36, s15, v40
	v_fma_f16 v40, v37, s14, v39
	v_add_f16_e32 v52, v40, v52
	v_mul_f16_sdwa v40, v37, s14 dst_sel:DWORD dst_unused:UNUSED_PAD src0_sel:WORD_1 src1_sel:DWORD
	v_fma_f16 v39, v37, s14, -v39
	v_add_f16_e32 v54, v39, v54
	v_fma_f16 v39, v36, s10, v40
	v_add_f16_sdwa v49, v33, v49 dst_sel:DWORD dst_unused:UNUSED_PAD src0_sel:WORD_1 src1_sel:DWORD
	v_add_f16_e32 v55, v39, v55
	v_pk_add_f16 v39, v17, v23 neg_lo:[0,1] neg_hi:[0,1]
	v_add_f16_e32 v49, v58, v49
	v_fma_f16 v58, v36, s19, v40
	v_pk_add_f16 v40, v23, v17
	v_pk_mul_f16 v23, v39, s19 op_sel_hi:[1,0]
	v_add_f16_sdwa v53, v33, v53 dst_sel:DWORD dst_unused:UNUSED_PAD src0_sel:WORD_1 src1_sel:DWORD
	v_pk_fma_f16 v17, v40, s14, v23 op_sel:[0,0,1] op_sel_hi:[1,0,0]
	v_pk_fma_f16 v23, v40, s14, v23 op_sel:[0,0,1] op_sel_hi:[1,0,0] neg_lo:[0,0,1] neg_hi:[0,0,1]
	v_add_f16_e32 v53, v58, v53
	v_bfi_b32 v58, s6, v17, v23
	v_pk_add_f16 v56, v58, v56
	v_mul_f16_sdwa v58, v39, s22 dst_sel:DWORD dst_unused:UNUSED_PAD src0_sel:WORD_1 src1_sel:DWORD
	v_fma_f16 v59, v40, s23, v58
	v_add_f16_e32 v57, v59, v57
	v_mul_f16_sdwa v59, v40, s23 dst_sel:DWORD dst_unused:UNUSED_PAD src0_sel:WORD_1 src1_sel:DWORD
	v_fma_f16 v58, v40, s23, -v58
	v_add_f16_e32 v42, v58, v42
	v_fma_f16 v58, v39, s22, v59
	v_add_f16_e32 v43, v58, v43
	v_mul_f16_sdwa v58, v39, s21 dst_sel:DWORD dst_unused:UNUSED_PAD src0_sel:WORD_1 src1_sel:DWORD
	v_fma_f16 v60, v39, s26, v59
	v_fma_f16 v59, v40, s16, v58
	v_add_f16_e32 v44, v59, v44
	v_mul_f16_sdwa v59, v40, s16 dst_sel:DWORD dst_unused:UNUSED_PAD src0_sel:WORD_1 src1_sel:DWORD
	v_fma_f16 v58, v40, s16, -v58
	v_add_f16_e32 v46, v58, v46
	v_fma_f16 v58, v39, s21, v59
	s_movk_i32 s25, 0x3770
	v_add_f16_e32 v47, v58, v47
	v_mul_f16_sdwa v58, v39, s25 dst_sel:DWORD dst_unused:UNUSED_PAD src0_sel:WORD_1 src1_sel:DWORD
	v_add_f16_e32 v41, v60, v41
	v_fma_f16 v60, v39, s11, v59
	v_fma_f16 v59, v40, s12, v58
	v_add_f16_e32 v48, v59, v48
	v_mul_f16_sdwa v59, v40, s12 dst_sel:DWORD dst_unused:UNUSED_PAD src0_sel:WORD_1 src1_sel:DWORD
	v_fma_f16 v58, v40, s12, -v58
	v_add_f16_e32 v50, v58, v50
	v_fma_f16 v58, v39, s25, v59
	v_add_f16_e32 v51, v58, v51
	v_mul_f16_sdwa v58, v39, s17 dst_sel:DWORD dst_unused:UNUSED_PAD src0_sel:WORD_1 src1_sel:DWORD
	v_add_f16_e32 v45, v60, v45
	v_fma_f16 v60, v39, s24, v59
	v_fma_f16 v59, v40, s13, v58
	v_add_f16_e32 v52, v59, v52
	v_mul_f16_sdwa v59, v40, s13 dst_sel:DWORD dst_unused:UNUSED_PAD src0_sel:WORD_1 src1_sel:DWORD
	v_fma_f16 v58, v40, s13, -v58
	v_add_f16_e32 v49, v60, v49
	v_fma_f16 v60, v39, s7, v59
	v_add_f16_e32 v54, v58, v54
	v_fma_f16 v58, v39, s17, v59
	v_pk_add_f16 v59, v15, v19 neg_lo:[0,1] neg_hi:[0,1]
	v_add_f16_e32 v55, v58, v55
	v_pk_add_f16 v58, v19, v15
	v_pk_mul_f16 v19, v59, s11 op_sel_hi:[1,0]
	v_pk_fma_f16 v15, v58, s16, v19 op_sel:[0,0,1] op_sel_hi:[1,0,0]
	v_pk_fma_f16 v19, v58, s16, v19 op_sel:[0,0,1] op_sel_hi:[1,0,0] neg_lo:[0,0,1] neg_hi:[0,0,1]
	v_add_f16_e32 v53, v60, v53
	v_bfi_b32 v60, s6, v15, v19
	v_pk_add_f16 v56, v60, v56
	v_mul_f16_sdwa v60, v59, s20 dst_sel:DWORD dst_unused:UNUSED_PAD src0_sel:WORD_1 src1_sel:DWORD
	v_fma_f16 v61, v58, s18, v60
	v_add_f16_e32 v57, v61, v57
	v_mul_f16_sdwa v61, v58, s18 dst_sel:DWORD dst_unused:UNUSED_PAD src0_sel:WORD_1 src1_sel:DWORD
	v_fma_f16 v60, v58, s18, -v60
	v_add_f16_e32 v42, v60, v42
	v_fma_f16 v60, v59, s20, v61
	v_add_f16_e32 v43, v60, v43
	v_mul_f16_sdwa v60, v59, s25 dst_sel:DWORD dst_unused:UNUSED_PAD src0_sel:WORD_1 src1_sel:DWORD
	v_fma_f16 v62, v59, s15, v61
	v_fma_f16 v61, v58, s12, v60
	v_add_f16_e32 v44, v61, v44
	v_mul_f16_sdwa v61, v58, s12 dst_sel:DWORD dst_unused:UNUSED_PAD src0_sel:WORD_1 src1_sel:DWORD
	v_fma_f16 v60, v58, s12, -v60
	v_add_f16_e32 v46, v60, v46
	v_fma_f16 v60, v59, s25, v61
	v_add_f16_e32 v47, v60, v47
	v_mul_f16_sdwa v60, v59, s19 dst_sel:DWORD dst_unused:UNUSED_PAD src0_sel:WORD_1 src1_sel:DWORD
	v_add_f16_e32 v41, v62, v41
	v_fma_f16 v62, v59, s24, v61
	v_fma_f16 v61, v58, s14, v60
	v_add_f16_e32 v48, v61, v48
	v_mul_f16_sdwa v61, v58, s14 dst_sel:DWORD dst_unused:UNUSED_PAD src0_sel:WORD_1 src1_sel:DWORD
	v_fma_f16 v60, v58, s14, -v60
	v_add_f16_e32 v50, v60, v50
	v_fma_f16 v60, v59, s19, v61
	v_add_f16_e32 v51, v60, v51
	v_mul_f16_sdwa v60, v59, s26 dst_sel:DWORD dst_unused:UNUSED_PAD src0_sel:WORD_1 src1_sel:DWORD
	v_add_f16_e32 v45, v62, v45
	v_fma_f16 v62, v59, s10, v61
	v_fma_f16 v61, v58, s23, v60
	v_add_f16_e32 v52, v61, v52
	v_mul_f16_sdwa v61, v58, s23 dst_sel:DWORD dst_unused:UNUSED_PAD src0_sel:WORD_1 src1_sel:DWORD
	v_fma_f16 v60, v58, s23, -v60
	v_add_f16_e32 v54, v60, v54
	v_fma_f16 v60, v59, s26, v61
	v_add_f16_e32 v55, v60, v55
	v_pk_add_f16 v60, v11, v13
	v_pk_add_f16 v13, v13, v11 neg_lo:[0,1] neg_hi:[0,1]
	v_add_f16_e32 v49, v62, v49
	v_fma_f16 v62, v59, s22, v61
	v_pk_mul_f16 v61, v13, s15 op_sel_hi:[1,0]
	v_pk_fma_f16 v11, v60, s18, v61 op_sel:[0,0,1] op_sel_hi:[1,0,0]
	v_pk_fma_f16 v61, v60, s18, v61 op_sel:[0,0,1] op_sel_hi:[1,0,0] neg_lo:[0,0,1] neg_hi:[0,0,1]
	v_add_f16_e32 v53, v62, v53
	v_bfi_b32 v62, s6, v11, v61
	v_pk_add_f16 v56, v62, v56
	v_mul_f16_sdwa v62, v13, s10 dst_sel:DWORD dst_unused:UNUSED_PAD src0_sel:WORD_1 src1_sel:DWORD
	v_fma_f16 v63, v60, s14, v62
	v_add_f16_e32 v57, v63, v57
	v_mul_f16_sdwa v63, v60, s14 dst_sel:DWORD dst_unused:UNUSED_PAD src0_sel:WORD_1 src1_sel:DWORD
	v_fma_f16 v62, v60, s14, -v62
	v_add_f16_e32 v42, v62, v42
	v_fma_f16 v62, v13, s10, v63
	v_add_f16_e32 v43, v62, v43
	v_mul_f16_sdwa v62, v13, s17 dst_sel:DWORD dst_unused:UNUSED_PAD src0_sel:WORD_1 src1_sel:DWORD
	v_fma_f16 v64, v13, s19, v63
	v_fma_f16 v63, v60, s13, v62
	v_add_f16_e32 v44, v63, v44
	v_mul_f16_sdwa v63, v60, s13 dst_sel:DWORD dst_unused:UNUSED_PAD src0_sel:WORD_1 src1_sel:DWORD
	v_fma_f16 v62, v60, s13, -v62
	v_add_f16_e32 v46, v62, v46
	v_fma_f16 v62, v13, s17, v63
	v_add_f16_e32 v47, v62, v47
	v_mul_f16_sdwa v62, v13, s26 dst_sel:DWORD dst_unused:UNUSED_PAD src0_sel:WORD_1 src1_sel:DWORD
	v_add_f16_e32 v41, v64, v41
	v_fma_f16 v64, v13, s7, v63
	v_fma_f16 v63, v60, s23, v62
	v_add_f16_e32 v48, v63, v48
	v_mul_f16_sdwa v63, v60, s23 dst_sel:DWORD dst_unused:UNUSED_PAD src0_sel:WORD_1 src1_sel:DWORD
	v_fma_f16 v62, v60, s23, -v62
	v_add_f16_e32 v50, v62, v50
	v_fma_f16 v62, v13, s26, v63
	v_add_f16_e32 v51, v62, v51
	v_mul_f16_sdwa v62, v13, s25 dst_sel:DWORD dst_unused:UNUSED_PAD src0_sel:WORD_1 src1_sel:DWORD
	v_add_f16_e32 v45, v64, v45
	v_fma_f16 v64, v13, s22, v63
	v_fma_f16 v63, v60, s12, v62
	v_add_f16_e32 v52, v63, v52
	v_mul_f16_sdwa v63, v60, s12 dst_sel:DWORD dst_unused:UNUSED_PAD src0_sel:WORD_1 src1_sel:DWORD
	v_fma_f16 v62, v60, s12, -v62
	v_add_f16_e32 v54, v62, v54
	v_fma_f16 v62, v13, s25, v63
	v_add_f16_e32 v55, v62, v55
	v_pk_add_f16 v62, v7, v9
	v_pk_add_f16 v7, v9, v7 neg_lo:[0,1] neg_hi:[0,1]
	v_pk_mul_f16 v9, v7, s22 op_sel_hi:[1,0]
	v_add_f16_e32 v49, v64, v49
	v_fma_f16 v64, v13, s24, v63
	v_pk_fma_f16 v63, v62, s23, v9 op_sel:[0,0,1] op_sel_hi:[1,0,0]
	v_pk_fma_f16 v9, v62, s23, v9 op_sel:[0,0,1] op_sel_hi:[1,0,0] neg_lo:[0,0,1] neg_hi:[0,0,1]
	v_add_f16_e32 v53, v64, v53
	v_bfi_b32 v64, s6, v63, v9
	v_pk_add_f16 v56, v64, v56
	v_mul_f16_sdwa v64, v7, s25 dst_sel:DWORD dst_unused:UNUSED_PAD src0_sel:WORD_1 src1_sel:DWORD
	v_fma_f16 v65, v62, s12, v64
	v_add_f16_e32 v57, v65, v57
	v_mul_f16_sdwa v65, v62, s12 dst_sel:DWORD dst_unused:UNUSED_PAD src0_sel:WORD_1 src1_sel:DWORD
	v_fma_f16 v64, v62, s12, -v64
	v_add_f16_e32 v42, v64, v42
	v_fma_f16 v64, v7, s25, v65
	v_add_f16_e32 v43, v64, v43
	v_mul_f16_sdwa v64, v7, s15 dst_sel:DWORD dst_unused:UNUSED_PAD src0_sel:WORD_1 src1_sel:DWORD
	v_fma_f16 v66, v7, s24, v65
	v_fma_f16 v65, v62, s18, v64
	v_add_f16_e32 v44, v65, v44
	v_mul_f16_sdwa v65, v62, s18 dst_sel:DWORD dst_unused:UNUSED_PAD src0_sel:WORD_1 src1_sel:DWORD
	v_fma_f16 v64, v62, s18, -v64
	v_add_f16_e32 v46, v64, v46
	v_fma_f16 v64, v7, s15, v65
	v_add_f16_e32 v47, v64, v47
	v_mul_f16_sdwa v64, v7, s7 dst_sel:DWORD dst_unused:UNUSED_PAD src0_sel:WORD_1 src1_sel:DWORD
	v_add_f16_e32 v41, v66, v41
	v_fma_f16 v66, v7, s20, v65
	v_fma_f16 v65, v62, s13, v64
	v_add_f16_e32 v48, v65, v48
	v_mul_f16_sdwa v65, v62, s13 dst_sel:DWORD dst_unused:UNUSED_PAD src0_sel:WORD_1 src1_sel:DWORD
	v_fma_f16 v64, v62, s13, -v64
	v_add_f16_e32 v50, v64, v50
	v_fma_f16 v64, v7, s7, v65
	v_add_f16_e32 v51, v64, v51
	v_mul_f16_sdwa v64, v7, s11 dst_sel:DWORD dst_unused:UNUSED_PAD src0_sel:WORD_1 src1_sel:DWORD
	v_add_f16_e32 v45, v66, v45
	v_fma_f16 v66, v7, s17, v65
	v_fma_f16 v65, v62, s16, v64
	v_add_f16_e32 v52, v65, v52
	v_mul_f16_sdwa v65, v62, s16 dst_sel:DWORD dst_unused:UNUSED_PAD src0_sel:WORD_1 src1_sel:DWORD
	v_mad_u32_u24 v32, v0, 52, v32
	v_add_f16_e32 v49, v66, v49
	v_fma_f16 v66, v7, s21, v65
	v_add_f16_e32 v53, v66, v53
	s_waitcnt lgkmcnt(0)
	; wave barrier
	ds_write2_b32 v32, v38, v56 offset1:1
	v_pack_b32_f16 v38, v44, v45
	v_pack_b32_f16 v41, v57, v41
	ds_write2_b32 v32, v41, v38 offset0:2 offset1:3
	v_pack_b32_f16 v38, v52, v53
	v_pack_b32_f16 v41, v48, v49
	v_pk_mul_f16 v35, v35, s23 op_sel_hi:[1,0]
	ds_write2_b32 v32, v41, v38 offset0:4 offset1:5
	v_pk_fma_f16 v38, v34, s22, v35 op_sel:[0,0,1] op_sel_hi:[1,0,0]
	v_pk_fma_f16 v34, v34, s22, v35 op_sel:[0,0,1] op_sel_hi:[1,0,0] neg_lo:[1,0,0] neg_hi:[1,0,0]
	v_alignbit_b32 v35, s0, v33, 16
	v_pk_mul_f16 v37, v37, s12 op_sel_hi:[1,0]
	v_alignbit_b32 v41, s0, v38, 16
	v_pk_add_f16 v34, v33, v34 op_sel:[1,0] op_sel_hi:[0,1]
	v_pk_add_f16 v35, v35, v38
	v_pk_fma_f16 v38, v36, s25, v37 op_sel:[0,0,1] op_sel_hi:[1,0,0]
	v_pk_fma_f16 v36, v36, s25, v37 op_sel:[0,0,1] op_sel_hi:[1,0,0] neg_lo:[1,0,0] neg_hi:[1,0,0]
	v_pk_add_f16 v34, v36, v34
	v_pk_mul_f16 v36, v40, s18 op_sel_hi:[1,0]
	v_pk_fma_f16 v37, v39, s15, v36 op_sel:[0,0,1] op_sel_hi:[1,0,0]
	v_pk_fma_f16 v36, v39, s15, v36 op_sel:[0,0,1] op_sel_hi:[1,0,0] neg_lo:[1,0,0] neg_hi:[1,0,0]
	v_pk_add_f16 v35, v38, v35
	v_pk_add_f16 v34, v36, v34
	v_pk_mul_f16 v36, v58, s13 op_sel_hi:[1,0]
	v_alignbit_b32 v44, s0, v38, 16
	v_alignbit_b32 v38, s0, v37, 16
	v_pk_add_f16 v35, v37, v35
	v_pk_fma_f16 v37, v59, s7, v36 op_sel:[0,0,1] op_sel_hi:[1,0,0]
	v_pk_fma_f16 v36, v59, s7, v36 op_sel:[0,0,1] op_sel_hi:[1,0,0] neg_lo:[1,0,0] neg_hi:[1,0,0]
	v_pk_add_f16 v41, v33, v41
	v_pk_add_f16 v34, v36, v34
	v_pk_mul_f16 v36, v60, s16 op_sel_hi:[1,0]
	v_pk_add_f16 v41, v44, v41
	v_alignbit_b32 v39, s0, v37, 16
	v_pk_add_f16 v35, v37, v35
	v_pk_fma_f16 v37, v13, s11, v36 op_sel:[0,0,1] op_sel_hi:[1,0,0]
	v_pk_fma_f16 v13, v13, s11, v36 op_sel:[0,0,1] op_sel_hi:[1,0,0] neg_lo:[1,0,0] neg_hi:[1,0,0]
	v_pk_add_f16 v38, v38, v41
	v_pk_add_f16 v13, v13, v34
	;; [unrolled: 1-line block ×3, first 2 shown]
	v_pk_mul_f16 v35, v62, s14 op_sel_hi:[1,0]
	v_fma_f16 v64, v62, s16, -v64
	v_pk_add_f16 v38, v39, v38
	v_alignbit_b32 v39, s0, v37, 16
	v_pk_fma_f16 v36, v7, s10, v35 op_sel:[0,0,1] op_sel_hi:[1,0,0]
	v_add_f16_e32 v54, v64, v54
	v_fma_f16 v64, v7, s11, v65
	v_pk_add_f16 v38, v39, v38
	v_alignbit_b32 v37, s0, v36, 16
	v_pk_fma_f16 v7, v7, s10, v35 op_sel:[0,0,1] op_sel_hi:[1,0,0] neg_lo:[1,0,0] neg_hi:[1,0,0]
	v_pk_add_f16 v37, v37, v38
	v_pk_add_f16 v7, v7, v13
	;; [unrolled: 1-line block ×3, first 2 shown]
	v_add_f16_e32 v55, v64, v55
	v_alignbit_b32 v13, v13, v7, 16
	v_pack_b32_f16 v7, v37, v7
	ds_write2_b32 v32, v7, v13 offset0:6 offset1:7
	v_pack_b32_f16 v7, v50, v51
	v_pack_b32_f16 v13, v54, v55
	ds_write2_b32 v32, v13, v7 offset0:8 offset1:9
	v_pack_b32_f16 v7, v42, v43
	v_pack_b32_f16 v13, v46, v47
	v_bfi_b32 v5, s6, v27, v5
	ds_write2_b32 v32, v13, v7 offset0:10 offset1:11
	v_pk_add_f16 v5, v33, v5
	v_bfi_b32 v7, s6, v25, v21
	v_pk_add_f16 v5, v7, v5
	v_bfi_b32 v7, s6, v23, v17
	;; [unrolled: 2-line block ×5, first 2 shown]
	v_pk_add_f16 v5, v7, v5
	v_cmp_gt_u32_e64 s[0:1], 8, v0
	ds_write_b32 v32, v5 offset:48
	s_and_saveexec_b64 s[4:5], s[0:1]
	s_cbranch_execz .LBB0_15
; %bb.14:
	v_pk_add_f16 v5, v4, v20
	v_pk_add_f16 v5, v5, v16
	;; [unrolled: 1-line block ×9, first 2 shown]
	v_pk_add_f16 v9, v20, v31 neg_lo:[0,1] neg_hi:[0,1]
	v_pk_add_f16 v11, v26, v16
	v_pk_add_f16 v17, v18, v8
	v_pk_add_f16 v8, v8, v18 neg_lo:[0,1] neg_hi:[0,1]
	v_pk_add_f16 v18, v10, v6
	v_pk_add_f16 v6, v6, v10 neg_lo:[0,1] neg_hi:[0,1]
	v_mul_f16_sdwa v10, v7, s18 dst_sel:DWORD dst_unused:UNUSED_PAD src0_sel:WORD_1 src1_sel:DWORD
	v_pk_add_f16 v13, v16, v26 neg_lo:[0,1] neg_hi:[0,1]
	v_fma_f16 v19, v9, s20, v10
	v_mul_f16_sdwa v20, v11, s14 dst_sel:DWORD dst_unused:UNUSED_PAD src0_sel:WORD_1 src1_sel:DWORD
	v_pk_add_f16 v15, v24, v14
	v_add_f16_sdwa v19, v4, v19 dst_sel:DWORD dst_unused:UNUSED_PAD src0_sel:WORD_1 src1_sel:DWORD
	v_fma_f16 v21, v13, s19, v20
	v_pk_add_f16 v14, v14, v24 neg_lo:[0,1] neg_hi:[0,1]
	v_add_f16_e32 v19, v21, v19
	v_mul_f16_sdwa v21, v15, s13 dst_sel:DWORD dst_unused:UNUSED_PAD src0_sel:WORD_1 src1_sel:DWORD
	v_pk_add_f16 v5, v5, v22
	v_pk_add_f16 v16, v22, v12
	v_pk_add_f16 v12, v12, v22 neg_lo:[0,1] neg_hi:[0,1]
	v_fma_f16 v22, v14, s7, v21
	v_add_f16_e32 v19, v22, v19
	v_mul_f16_sdwa v22, v16, s23 dst_sel:DWORD dst_unused:UNUSED_PAD src0_sel:WORD_1 src1_sel:DWORD
	v_fma_f16 v23, v12, s22, v22
	v_add_f16_e32 v19, v23, v19
	v_mul_f16_sdwa v23, v17, s12 dst_sel:DWORD dst_unused:UNUSED_PAD src0_sel:WORD_1 src1_sel:DWORD
	v_pk_add_f16 v5, v5, v24
	v_fma_f16 v24, v8, s24, v23
	v_add_f16_e32 v19, v24, v19
	v_mul_f16_sdwa v24, v18, s16 dst_sel:DWORD dst_unused:UNUSED_PAD src0_sel:WORD_1 src1_sel:DWORD
	v_fma_f16 v25, v6, s21, v24
	v_add_f16_e32 v19, v25, v19
	v_mul_f16_sdwa v25, v9, s15 dst_sel:DWORD dst_unused:UNUSED_PAD src0_sel:WORD_1 src1_sel:DWORD
	v_pk_add_f16 v5, v5, v26
	v_fma_f16 v26, v7, s18, v25
	v_mul_f16_sdwa v27, v13, s10 dst_sel:DWORD dst_unused:UNUSED_PAD src0_sel:WORD_1 src1_sel:DWORD
	v_pk_add_f16 v5, v5, v31
	v_add_f16_e32 v26, v4, v26
	v_fma_f16 v31, v11, s14, v27
	v_add_f16_e32 v26, v31, v26
	v_mul_f16_sdwa v31, v14, s17 dst_sel:DWORD dst_unused:UNUSED_PAD src0_sel:WORD_1 src1_sel:DWORD
	v_fma_f16 v32, v15, s13, v31
	v_add_f16_e32 v26, v32, v26
	v_mul_f16_sdwa v32, v12, s26 dst_sel:DWORD dst_unused:UNUSED_PAD src0_sel:WORD_1 src1_sel:DWORD
	;; [unrolled: 3-line block ×5, first 2 shown]
	v_fma_f16 v36, v9, s21, v35
	v_mul_f16_sdwa v37, v11, s18 dst_sel:DWORD dst_unused:UNUSED_PAD src0_sel:WORD_1 src1_sel:DWORD
	v_add_f16_sdwa v36, v4, v36 dst_sel:DWORD dst_unused:UNUSED_PAD src0_sel:WORD_1 src1_sel:DWORD
	v_fma_f16 v38, v13, s15, v37
	v_add_f16_e32 v36, v38, v36
	v_mul_f16_sdwa v38, v15, s12 dst_sel:DWORD dst_unused:UNUSED_PAD src0_sel:WORD_1 src1_sel:DWORD
	v_fma_f16 v39, v14, s24, v38
	v_add_f16_e32 v36, v39, v36
	v_mul_f16_sdwa v39, v16, s14 dst_sel:DWORD dst_unused:UNUSED_PAD src0_sel:WORD_1 src1_sel:DWORD
	;; [unrolled: 3-line block ×5, first 2 shown]
	v_fma_f16 v43, v7, s16, v42
	v_mul_f16_sdwa v44, v13, s20 dst_sel:DWORD dst_unused:UNUSED_PAD src0_sel:WORD_1 src1_sel:DWORD
	v_add_f16_e32 v43, v4, v43
	v_fma_f16 v45, v11, s18, v44
	v_add_f16_e32 v43, v45, v43
	v_mul_f16_sdwa v45, v14, s25 dst_sel:DWORD dst_unused:UNUSED_PAD src0_sel:WORD_1 src1_sel:DWORD
	v_fma_f16 v46, v15, s12, v45
	v_add_f16_e32 v43, v46, v43
	v_mul_f16_sdwa v46, v12, s19 dst_sel:DWORD dst_unused:UNUSED_PAD src0_sel:WORD_1 src1_sel:DWORD
	;; [unrolled: 3-line block ×5, first 2 shown]
	v_fma_f16 v50, v9, s10, v49
	v_mul_f16_sdwa v51, v11, s23 dst_sel:DWORD dst_unused:UNUSED_PAD src0_sel:WORD_1 src1_sel:DWORD
	v_add_f16_sdwa v50, v4, v50 dst_sel:DWORD dst_unused:UNUSED_PAD src0_sel:WORD_1 src1_sel:DWORD
	v_fma_f16 v52, v13, s26, v51
	v_add_f16_e32 v50, v52, v50
	v_mul_f16_sdwa v52, v15, s16 dst_sel:DWORD dst_unused:UNUSED_PAD src0_sel:WORD_1 src1_sel:DWORD
	v_fma_f16 v53, v14, s11, v52
	v_add_f16_e32 v50, v53, v50
	v_mul_f16_sdwa v53, v16, s12 dst_sel:DWORD dst_unused:UNUSED_PAD src0_sel:WORD_1 src1_sel:DWORD
	;; [unrolled: 3-line block ×5, first 2 shown]
	v_fma_f16 v57, v7, s14, v56
	v_mul_f16_sdwa v58, v13, s22 dst_sel:DWORD dst_unused:UNUSED_PAD src0_sel:WORD_1 src1_sel:DWORD
	v_add_f16_e32 v57, v4, v57
	v_fma_f16 v59, v11, s23, v58
	v_fma_f16 v10, v9, s15, v10
	v_add_f16_e32 v57, v59, v57
	v_mul_f16_sdwa v59, v14, s21 dst_sel:DWORD dst_unused:UNUSED_PAD src0_sel:WORD_1 src1_sel:DWORD
	v_add_f16_sdwa v10, v4, v10 dst_sel:DWORD dst_unused:UNUSED_PAD src0_sel:WORD_1 src1_sel:DWORD
	v_fma_f16 v20, v13, s10, v20
	v_fma_f16 v60, v15, s16, v59
	v_add_f16_e32 v10, v20, v10
	v_fma_f16 v20, v14, s17, v21
	v_add_f16_e32 v57, v60, v57
	v_mul_f16_sdwa v60, v12, s25 dst_sel:DWORD dst_unused:UNUSED_PAD src0_sel:WORD_1 src1_sel:DWORD
	v_add_f16_e32 v10, v20, v10
	v_fma_f16 v20, v12, s26, v22
	v_fma_f16 v61, v16, s12, v60
	v_add_f16_e32 v10, v20, v10
	v_fma_f16 v20, v8, s25, v23
	v_add_f16_e32 v57, v61, v57
	v_mul_f16_sdwa v61, v8, s17 dst_sel:DWORD dst_unused:UNUSED_PAD src0_sel:WORD_1 src1_sel:DWORD
	v_add_f16_e32 v10, v20, v10
	v_fma_f16 v20, v6, s11, v24
	v_fma_f16 v62, v17, s13, v61
	v_add_f16_e32 v10, v20, v10
	v_fma_f16 v20, v7, s18, -v25
	v_add_f16_e32 v57, v62, v57
	v_mul_f16_sdwa v62, v6, s15 dst_sel:DWORD dst_unused:UNUSED_PAD src0_sel:WORD_1 src1_sel:DWORD
	v_add_f16_e32 v20, v4, v20
	v_fma_f16 v21, v11, s14, -v27
	v_fma_f16 v63, v18, s18, v62
	v_add_f16_e32 v20, v21, v20
	v_fma_f16 v21, v15, s13, -v31
	v_add_f16_e32 v57, v63, v57
	v_mul_f16_sdwa v63, v7, s13 dst_sel:DWORD dst_unused:UNUSED_PAD src0_sel:WORD_1 src1_sel:DWORD
	v_add_f16_e32 v20, v21, v20
	v_fma_f16 v21, v16, s23, -v32
	v_fma_f16 v64, v9, s7, v63
	v_mul_f16_sdwa v65, v11, s16 dst_sel:DWORD dst_unused:UNUSED_PAD src0_sel:WORD_1 src1_sel:DWORD
	v_add_f16_e32 v20, v21, v20
	v_fma_f16 v21, v17, s12, -v33
	v_add_f16_sdwa v64, v4, v64 dst_sel:DWORD dst_unused:UNUSED_PAD src0_sel:WORD_1 src1_sel:DWORD
	v_fma_f16 v66, v13, s21, v65
	v_add_f16_e32 v20, v21, v20
	v_fma_f16 v21, v18, s16, -v34
	v_add_f16_e32 v64, v66, v64
	v_mul_f16_sdwa v66, v15, s23 dst_sel:DWORD dst_unused:UNUSED_PAD src0_sel:WORD_1 src1_sel:DWORD
	v_add_f16_e32 v20, v21, v20
	v_fma_f16 v21, v9, s11, v35
	v_fma_f16 v67, v14, s26, v66
	v_add_f16_sdwa v21, v4, v21 dst_sel:DWORD dst_unused:UNUSED_PAD src0_sel:WORD_1 src1_sel:DWORD
	v_fma_f16 v22, v13, s20, v37
	v_add_f16_e32 v64, v67, v64
	v_mul_f16_sdwa v67, v16, s18 dst_sel:DWORD dst_unused:UNUSED_PAD src0_sel:WORD_1 src1_sel:DWORD
	v_add_f16_e32 v21, v22, v21
	v_fma_f16 v22, v14, s25, v38
	v_fma_f16 v68, v12, s15, v67
	v_add_f16_e32 v21, v22, v21
	v_fma_f16 v22, v12, s19, v39
	v_add_f16_e32 v64, v68, v64
	v_mul_f16_sdwa v68, v17, s14 dst_sel:DWORD dst_unused:UNUSED_PAD src0_sel:WORD_1 src1_sel:DWORD
	v_add_f16_e32 v21, v22, v21
	v_fma_f16 v22, v8, s26, v40
	v_fma_f16 v69, v8, s19, v68
	v_add_f16_e32 v21, v22, v21
	v_fma_f16 v23, v6, s7, v41
	v_add_f16_e32 v64, v69, v64
	v_mul_f16_sdwa v69, v18, s12 dst_sel:DWORD dst_unused:UNUSED_PAD src0_sel:WORD_1 src1_sel:DWORD
	v_add_f16_e32 v21, v23, v21
	v_fma_f16 v23, v7, s16, -v42
	v_fma_f16 v70, v6, s24, v69
	v_add_f16_e32 v23, v4, v23
	v_fma_f16 v24, v11, s18, -v44
	v_add_f16_e32 v64, v70, v64
	v_mul_f16_sdwa v70, v9, s17 dst_sel:DWORD dst_unused:UNUSED_PAD src0_sel:WORD_1 src1_sel:DWORD
	v_add_f16_e32 v23, v24, v23
	v_fma_f16 v24, v15, s12, -v45
	v_fma_f16 v71, v7, s13, v70
	v_mul_f16_sdwa v72, v13, s11 dst_sel:DWORD dst_unused:UNUSED_PAD src0_sel:WORD_1 src1_sel:DWORD
	v_add_f16_e32 v23, v24, v23
	v_fma_f16 v24, v16, s14, -v46
	v_add_f16_e32 v71, v4, v71
	v_fma_f16 v73, v11, s16, v72
	v_add_f16_e32 v23, v24, v23
	v_fma_f16 v24, v17, s23, -v47
	v_add_f16_e32 v71, v73, v71
	v_mul_f16_sdwa v73, v14, s22 dst_sel:DWORD dst_unused:UNUSED_PAD src0_sel:WORD_1 src1_sel:DWORD
	v_add_f16_e32 v23, v24, v23
	v_fma_f16 v24, v18, s13, -v48
	v_fma_f16 v74, v15, s23, v73
	v_add_f16_e32 v23, v24, v23
	v_fma_f16 v24, v9, s19, v49
	v_add_f16_e32 v71, v74, v71
	v_mul_f16_sdwa v74, v12, s20 dst_sel:DWORD dst_unused:UNUSED_PAD src0_sel:WORD_1 src1_sel:DWORD
	v_add_f16_sdwa v24, v4, v24 dst_sel:DWORD dst_unused:UNUSED_PAD src0_sel:WORD_1 src1_sel:DWORD
	v_fma_f16 v25, v13, s22, v51
	v_fma_f16 v75, v16, s18, v74
	v_add_f16_e32 v24, v25, v24
	v_fma_f16 v25, v14, s21, v52
	v_add_f16_e32 v71, v75, v71
	v_mul_f16_sdwa v75, v8, s10 dst_sel:DWORD dst_unused:UNUSED_PAD src0_sel:WORD_1 src1_sel:DWORD
	v_add_f16_e32 v24, v25, v24
	v_fma_f16 v25, v12, s25, v53
	v_fma_f16 v76, v17, s14, v75
	v_add_f16_e32 v24, v25, v24
	v_fma_f16 v25, v8, s17, v54
	v_add_f16_e32 v71, v76, v71
	v_mul_f16_sdwa v76, v6, s25 dst_sel:DWORD dst_unused:UNUSED_PAD src0_sel:WORD_1 src1_sel:DWORD
	v_add_f16_e32 v24, v25, v24
	v_fma_f16 v25, v6, s15, v55
	v_fma_f16 v77, v18, s12, v76
	v_add_f16_e32 v24, v25, v24
	v_fma_f16 v25, v7, s14, -v56
	v_add_f16_e32 v71, v77, v71
	v_pk_mul_f16 v77, v9, s24 op_sel_hi:[1,0]
	v_add_f16_e32 v25, v4, v25
	v_fma_f16 v27, v11, s23, -v58
	v_pk_fma_f16 v78, v7, s12, v77 op_sel:[0,0,1] op_sel_hi:[1,0,0]
	v_pk_fma_f16 v77, v7, s12, v77 op_sel:[0,0,1] op_sel_hi:[1,0,0] neg_lo:[0,0,1] neg_hi:[0,0,1]
	v_pk_mul_f16 v80, v13, s17 op_sel_hi:[1,0]
	v_add_f16_e32 v25, v27, v25
	v_fma_f16 v27, v15, s16, -v59
	v_bfi_b32 v79, s6, v78, v77
	v_pk_fma_f16 v81, v11, s13, v80 op_sel:[0,0,1] op_sel_hi:[1,0,0]
	v_pk_fma_f16 v80, v11, s13, v80 op_sel:[0,0,1] op_sel_hi:[1,0,0] neg_lo:[0,0,1] neg_hi:[0,0,1]
	v_add_f16_e32 v25, v27, v25
	v_fma_f16 v27, v16, s12, -v60
	v_pk_add_f16 v79, v4, v79
	v_bfi_b32 v82, s6, v81, v80
	v_add_f16_e32 v25, v27, v25
	v_fma_f16 v27, v17, s13, -v61
	v_pk_add_f16 v79, v82, v79
	v_pk_mul_f16 v82, v14, s19 op_sel_hi:[1,0]
	v_add_f16_e32 v25, v27, v25
	v_fma_f16 v27, v18, s18, -v62
	v_pk_fma_f16 v83, v15, s14, v82 op_sel:[0,0,1] op_sel_hi:[1,0,0]
	v_pk_fma_f16 v82, v15, s14, v82 op_sel:[0,0,1] op_sel_hi:[1,0,0] neg_lo:[0,0,1] neg_hi:[0,0,1]
	v_add_f16_e32 v25, v27, v25
	v_fma_f16 v27, v9, s17, v63
	v_bfi_b32 v84, s6, v83, v82
	v_add_f16_sdwa v27, v4, v27 dst_sel:DWORD dst_unused:UNUSED_PAD src0_sel:WORD_1 src1_sel:DWORD
	v_fma_f16 v31, v13, s11, v65
	v_pk_add_f16 v79, v84, v79
	v_pk_mul_f16 v84, v12, s11 op_sel_hi:[1,0]
	v_add_f16_e32 v27, v31, v27
	v_fma_f16 v31, v14, s22, v66
	v_pk_fma_f16 v85, v16, s16, v84 op_sel:[0,0,1] op_sel_hi:[1,0,0]
	v_pk_fma_f16 v84, v16, s16, v84 op_sel:[0,0,1] op_sel_hi:[1,0,0] neg_lo:[0,0,1] neg_hi:[0,0,1]
	v_add_f16_e32 v27, v31, v27
	v_fma_f16 v31, v12, s20, v67
	v_bfi_b32 v86, s6, v85, v84
	v_add_f16_e32 v27, v31, v27
	v_fma_f16 v31, v8, s10, v68
	v_pk_add_f16 v79, v86, v79
	v_pk_mul_f16 v86, v8, s15 op_sel_hi:[1,0]
	v_add_f16_e32 v27, v31, v27
	v_fma_f16 v31, v6, s25, v69
	v_pk_fma_f16 v87, v17, s18, v86 op_sel:[0,0,1] op_sel_hi:[1,0,0]
	v_pk_fma_f16 v86, v17, s18, v86 op_sel:[0,0,1] op_sel_hi:[1,0,0] neg_lo:[0,0,1] neg_hi:[0,0,1]
	v_add_f16_e32 v27, v31, v27
	v_fma_f16 v31, v7, s13, -v70
	v_bfi_b32 v88, s6, v87, v86
	v_add_f16_e32 v31, v4, v31
	v_fma_f16 v32, v11, s16, -v72
	v_pk_add_f16 v79, v88, v79
	v_pk_mul_f16 v88, v6, s22 op_sel_hi:[1,0]
	v_add_f16_e32 v31, v32, v31
	v_fma_f16 v32, v15, s23, -v73
	v_pk_fma_f16 v89, v18, s23, v88 op_sel:[0,0,1] op_sel_hi:[1,0,0]
	v_pk_fma_f16 v88, v18, s23, v88 op_sel:[0,0,1] op_sel_hi:[1,0,0] neg_lo:[0,0,1] neg_hi:[0,0,1]
	v_add_f16_e32 v31, v32, v31
	v_fma_f16 v32, v16, s18, -v74
	v_bfi_b32 v90, s6, v89, v88
	v_mul_i32_i24_e32 v22, 52, v29
	v_add_f16_e32 v31, v32, v31
	v_fma_f16 v32, v17, s14, -v75
	v_pk_add_f16 v79, v90, v79
	v_add3_u32 v22, 0, v22, v30
	v_add_f16_e32 v31, v32, v31
	v_fma_f16 v32, v18, s12, -v76
	v_add_f16_e32 v31, v32, v31
	ds_write2_b32 v22, v5, v79 offset1:1
	v_pack_b32_f16 v5, v57, v50
	v_pack_b32_f16 v32, v71, v64
	ds_write2_b32 v22, v32, v5 offset0:2 offset1:3
	v_pack_b32_f16 v5, v26, v19
	v_pack_b32_f16 v19, v43, v36
	ds_write2_b32 v22, v19, v5 offset0:4 offset1:5
	v_pk_mul_f16 v5, v7, s23 op_sel_hi:[1,0]
	v_pk_fma_f16 v7, v9, s22, v5 op_sel:[0,0,1] op_sel_hi:[1,0,0]
	v_pk_mul_f16 v11, v11, s12 op_sel_hi:[1,0]
	v_alignbit_b32 v19, s0, v7, 16
	v_pk_fma_f16 v26, v13, s25, v11 op_sel:[0,0,1] op_sel_hi:[1,0,0]
	v_pk_add_f16 v19, v4, v19
	v_alignbit_b32 v32, s0, v26, 16
	v_pk_mul_f16 v15, v15, s18 op_sel_hi:[1,0]
	v_pk_add_f16 v19, v32, v19
	v_pk_fma_f16 v32, v14, s15, v15 op_sel:[0,0,1] op_sel_hi:[1,0,0]
	v_alignbit_b32 v33, s0, v32, 16
	v_pk_mul_f16 v16, v16, s13 op_sel_hi:[1,0]
	v_pk_add_f16 v19, v33, v19
	v_pk_fma_f16 v33, v12, s7, v16 op_sel:[0,0,1] op_sel_hi:[1,0,0]
	;; [unrolled: 4-line block ×4, first 2 shown]
	v_alignbit_b32 v36, s0, v35, 16
	v_pk_add_f16 v19, v36, v19
	v_alignbit_b32 v36, s0, v4, 16
	v_pk_fma_f16 v5, v9, s22, v5 op_sel:[0,0,1] op_sel_hi:[1,0,0] neg_lo:[1,0,0] neg_hi:[1,0,0]
	v_pk_add_f16 v7, v36, v7
	v_pk_add_f16 v5, v4, v5 op_sel:[1,0] op_sel_hi:[0,1]
	v_pk_fma_f16 v9, v13, s25, v11 op_sel:[0,0,1] op_sel_hi:[1,0,0] neg_lo:[1,0,0] neg_hi:[1,0,0]
	v_pk_add_f16 v7, v26, v7
	v_pk_add_f16 v5, v9, v5
	v_pk_fma_f16 v9, v14, s15, v15 op_sel:[0,0,1] op_sel_hi:[1,0,0] neg_lo:[1,0,0] neg_hi:[1,0,0]
	v_pk_add_f16 v7, v32, v7
	v_pk_add_f16 v5, v9, v5
	;; [unrolled: 3-line block ×5, first 2 shown]
	v_alignbit_b32 v6, v7, v5, 16
	v_pack_b32_f16 v5, v19, v5
	ds_write2_b32 v22, v5, v6 offset0:6 offset1:7
	v_pack_b32_f16 v5, v23, v21
	v_pack_b32_f16 v6, v20, v10
	ds_write2_b32 v22, v6, v5 offset0:8 offset1:9
	v_pack_b32_f16 v5, v31, v27
	v_pack_b32_f16 v6, v25, v24
	ds_write2_b32 v22, v6, v5 offset0:10 offset1:11
	v_bfi_b32 v5, s6, v77, v78
	v_pk_add_f16 v4, v4, v5
	v_bfi_b32 v5, s6, v80, v81
	v_pk_add_f16 v4, v5, v4
	;; [unrolled: 2-line block ×6, first 2 shown]
	ds_write_b32 v22, v4 offset:48
.LBB0_15:
	s_or_b64 exec, exec, s[4:5]
	v_lshlrev_b32_e32 v4, 1, v0
	v_mov_b32_e32 v5, 0
	v_lshlrev_b64 v[6:7], 2, v[4:5]
	v_mov_b32_e32 v27, s9
	v_add_co_u32_e64 v6, s[0:1], s8, v6
	v_addc_co_u32_e64 v7, s[0:1], v27, v7, s[0:1]
	s_waitcnt lgkmcnt(0)
	; wave barrier
	s_waitcnt lgkmcnt(0)
	global_load_dwordx2 v[7:8], v[6:7], off
	v_add_u16_e32 v4, 26, v0
	s_movk_i32 s0, 0x4f
	v_mul_lo_u16_sdwa v9, v4, s0 dst_sel:DWORD dst_unused:UNUSED_PAD src0_sel:BYTE_0 src1_sel:DWORD
	v_lshrrev_b16_e32 v9, 10, v9
	v_mul_lo_u16_e32 v9, 13, v9
	v_mov_b32_e32 v6, 3
	v_sub_u16_e32 v4, v4, v9
	v_add_u16_e32 v11, 39, v0
	v_lshlrev_b32_sdwa v9, v6, v4 dst_sel:DWORD dst_unused:UNUSED_PAD src0_sel:DWORD src1_sel:BYTE_0
	v_mul_lo_u16_sdwa v12, v11, s0 dst_sel:DWORD dst_unused:UNUSED_PAD src0_sel:BYTE_0 src1_sel:DWORD
	global_load_dwordx2 v[9:10], v9, s[8:9]
	v_lshrrev_b16_e32 v12, 10, v12
	v_mul_lo_u16_e32 v12, 13, v12
	v_sub_u16_e32 v42, v11, v12
	v_add_u16_e32 v15, 52, v0
	v_lshlrev_b32_sdwa v11, v6, v42 dst_sel:DWORD dst_unused:UNUSED_PAD src0_sel:DWORD src1_sel:BYTE_0
	global_load_dwordx2 v[11:12], v11, s[8:9]
	v_mul_lo_u16_sdwa v16, v15, s0 dst_sel:DWORD dst_unused:UNUSED_PAD src0_sel:BYTE_0 src1_sel:DWORD
	v_lshrrev_b16_e32 v16, 10, v16
	v_mul_lo_u16_e32 v16, 13, v16
	v_sub_u16_e32 v43, v15, v16
	v_add_u16_e32 v19, 0x41, v0
	v_lshlrev_b32_sdwa v15, v6, v43 dst_sel:DWORD dst_unused:UNUSED_PAD src0_sel:DWORD src1_sel:BYTE_0
	global_load_dwordx2 v[15:16], v15, s[8:9]
	v_mul_lo_u16_sdwa v20, v19, s0 dst_sel:DWORD dst_unused:UNUSED_PAD src0_sel:BYTE_0 src1_sel:DWORD
	v_lshrrev_b16_e32 v20, 10, v20
	v_mul_lo_u16_e32 v20, 13, v20
	v_sub_u16_e32 v44, v19, v20
	v_add_u16_e32 v21, 0x4e, v0
	v_lshlrev_b32_sdwa v19, v6, v44 dst_sel:DWORD dst_unused:UNUSED_PAD src0_sel:DWORD src1_sel:BYTE_0
	v_mul_lo_u16_sdwa v22, v21, s0 dst_sel:DWORD dst_unused:UNUSED_PAD src0_sel:BYTE_0 src1_sel:DWORD
	global_load_dwordx2 v[19:20], v19, s[8:9]
	v_lshrrev_b16_e32 v22, 10, v22
	v_mul_lo_u16_e32 v22, 13, v22
	v_sub_u16_e32 v46, v21, v22
	v_lshlrev_b32_sdwa v6, v6, v46 dst_sel:DWORD dst_unused:UNUSED_PAD src0_sel:DWORD src1_sel:BYTE_0
	global_load_dwordx2 v[21:22], v6, s[8:9]
	ds_read2_b32 v[13:14], v1 offset0:78 offset1:91
	ds_read2_b32 v[17:18], v1 offset0:182 offset1:195
	ds_read_b32 v41, v28
	ds_read2_b32 v[23:24], v1 offset0:104 offset1:117
	ds_read2_b32 v[25:26], v1 offset0:26 offset1:39
	ds_read2_b32 v[31:32], v1 offset0:208 offset1:221
	ds_read2_b32 v[33:34], v1 offset0:130 offset1:143
	ds_read2_b32 v[35:36], v1 offset0:52 offset1:65
	ds_read2_b32 v[37:38], v1 offset0:234 offset1:247
	ds_read2_b32 v[39:40], v1 offset0:156 offset1:169
	s_waitcnt lgkmcnt(6)
	v_lshrrev_b32_e32 v50, 16, v23
	v_lshrrev_b32_e32 v66, 16, v14
	;; [unrolled: 1-line block ×5, first 2 shown]
	s_waitcnt lgkmcnt(4)
	v_lshrrev_b32_e32 v54, 16, v31
	s_waitcnt lgkmcnt(3)
	v_lshrrev_b32_e32 v56, 16, v33
	v_lshrrev_b32_e32 v57, 16, v32
	;; [unrolled: 1-line block ×3, first 2 shown]
	s_waitcnt lgkmcnt(1)
	v_lshrrev_b32_e32 v60, 16, v37
	v_lshlrev_b32_e32 v45, 2, v29
	v_add3_u32 v6, 0, v45, v30
	s_waitcnt lgkmcnt(0)
	v_lshrrev_b32_e32 v62, 16, v39
	ds_read_b32 v45, v6
	ds_read_b32 v47, v1 offset:1040
	v_lshrrev_b32_e32 v63, 16, v38
	v_lshrrev_b32_e32 v65, 16, v40
	;; [unrolled: 1-line block ×3, first 2 shown]
	s_mov_b32 s0, 0xbaee
	s_waitcnt lgkmcnt(0)
	v_lshrrev_b32_e32 v68, 16, v47
	s_movk_i32 s1, 0x3aee
	v_lshrrev_b32_e32 v67, 16, v45
	v_lshrrev_b32_e32 v52, 16, v25
	s_waitcnt lgkmcnt(0)
	; wave barrier
	v_lshrrev_b32_e32 v55, 16, v26
	v_lshrrev_b32_e32 v58, 16, v35
	;; [unrolled: 1-line block ×4, first 2 shown]
	s_mov_b32 s4, 0xbcab
	s_movk_i32 s5, 0x39e0
	s_mov_b32 s6, 0xb9e0
	s_mov_b32 s7, 0xb574
	s_waitcnt vmcnt(5)
	v_mul_f16_sdwa v69, v7, v66 dst_sel:DWORD dst_unused:UNUSED_PAD src0_sel:WORD_1 src1_sel:DWORD
	v_mul_f16_sdwa v70, v7, v14 dst_sel:DWORD dst_unused:UNUSED_PAD src0_sel:WORD_1 src1_sel:DWORD
	v_fma_f16 v14, v7, v14, v69
	v_mul_f16_sdwa v69, v49, v8 dst_sel:DWORD dst_unused:UNUSED_PAD src0_sel:DWORD src1_sel:WORD_1
	v_fma_f16 v69, v17, v8, v69
	v_mul_f16_sdwa v17, v17, v8 dst_sel:DWORD dst_unused:UNUSED_PAD src0_sel:DWORD src1_sel:WORD_1
	v_fma_f16 v17, v49, v8, -v17
	v_mul_f16_sdwa v49, v50, v7 dst_sel:DWORD dst_unused:UNUSED_PAD src0_sel:DWORD src1_sel:WORD_1
	v_fma_f16 v49, v23, v7, v49
	v_mul_f16_sdwa v23, v23, v7 dst_sel:DWORD dst_unused:UNUSED_PAD src0_sel:DWORD src1_sel:WORD_1
	v_fma_f16 v66, v7, v66, -v70
	v_fma_f16 v7, v50, v7, -v23
	v_mul_f16_sdwa v23, v51, v8 dst_sel:DWORD dst_unused:UNUSED_PAD src0_sel:DWORD src1_sel:WORD_1
	v_fma_f16 v23, v18, v8, v23
	v_mul_f16_sdwa v18, v18, v8 dst_sel:DWORD dst_unused:UNUSED_PAD src0_sel:DWORD src1_sel:WORD_1
	v_fma_f16 v8, v51, v8, -v18
	s_waitcnt vmcnt(4)
	v_mul_f16_sdwa v18, v53, v9 dst_sel:DWORD dst_unused:UNUSED_PAD src0_sel:DWORD src1_sel:WORD_1
	v_fma_f16 v18, v24, v9, v18
	v_mul_f16_sdwa v24, v24, v9 dst_sel:DWORD dst_unused:UNUSED_PAD src0_sel:DWORD src1_sel:WORD_1
	v_fma_f16 v9, v53, v9, -v24
	v_mul_f16_sdwa v24, v54, v10 dst_sel:DWORD dst_unused:UNUSED_PAD src0_sel:DWORD src1_sel:WORD_1
	v_fma_f16 v24, v31, v10, v24
	v_mul_f16_sdwa v31, v31, v10 dst_sel:DWORD dst_unused:UNUSED_PAD src0_sel:DWORD src1_sel:WORD_1
	v_fma_f16 v10, v54, v10, -v31
	s_waitcnt vmcnt(3)
	v_mul_f16_sdwa v31, v56, v11 dst_sel:DWORD dst_unused:UNUSED_PAD src0_sel:DWORD src1_sel:WORD_1
	v_fma_f16 v31, v33, v11, v31
	v_mul_f16_sdwa v33, v33, v11 dst_sel:DWORD dst_unused:UNUSED_PAD src0_sel:DWORD src1_sel:WORD_1
	v_fma_f16 v11, v56, v11, -v33
	v_mul_f16_sdwa v33, v57, v12 dst_sel:DWORD dst_unused:UNUSED_PAD src0_sel:DWORD src1_sel:WORD_1
	v_fma_f16 v33, v32, v12, v33
	v_mul_f16_sdwa v32, v32, v12 dst_sel:DWORD dst_unused:UNUSED_PAD src0_sel:DWORD src1_sel:WORD_1
	v_fma_f16 v12, v57, v12, -v32
	s_waitcnt vmcnt(2)
	v_mul_f16_sdwa v32, v59, v15 dst_sel:DWORD dst_unused:UNUSED_PAD src0_sel:DWORD src1_sel:WORD_1
	v_fma_f16 v32, v34, v15, v32
	v_mul_f16_sdwa v34, v34, v15 dst_sel:DWORD dst_unused:UNUSED_PAD src0_sel:DWORD src1_sel:WORD_1
	v_fma_f16 v15, v59, v15, -v34
	v_mul_f16_sdwa v34, v60, v16 dst_sel:DWORD dst_unused:UNUSED_PAD src0_sel:DWORD src1_sel:WORD_1
	v_fma_f16 v34, v37, v16, v34
	v_mul_f16_sdwa v37, v37, v16 dst_sel:DWORD dst_unused:UNUSED_PAD src0_sel:DWORD src1_sel:WORD_1
	v_fma_f16 v16, v60, v16, -v37
	s_waitcnt vmcnt(1)
	v_mul_f16_sdwa v37, v62, v19 dst_sel:DWORD dst_unused:UNUSED_PAD src0_sel:DWORD src1_sel:WORD_1
	v_fma_f16 v37, v39, v19, v37
	v_mul_f16_sdwa v39, v39, v19 dst_sel:DWORD dst_unused:UNUSED_PAD src0_sel:DWORD src1_sel:WORD_1
	v_fma_f16 v19, v62, v19, -v39
	v_mul_f16_sdwa v39, v63, v20 dst_sel:DWORD dst_unused:UNUSED_PAD src0_sel:DWORD src1_sel:WORD_1
	v_fma_f16 v39, v38, v20, v39
	v_mul_f16_sdwa v38, v38, v20 dst_sel:DWORD dst_unused:UNUSED_PAD src0_sel:DWORD src1_sel:WORD_1
	v_fma_f16 v20, v63, v20, -v38
	s_waitcnt vmcnt(0)
	v_mul_f16_sdwa v38, v65, v21 dst_sel:DWORD dst_unused:UNUSED_PAD src0_sel:DWORD src1_sel:WORD_1
	v_fma_f16 v38, v40, v21, v38
	v_mul_f16_sdwa v40, v40, v21 dst_sel:DWORD dst_unused:UNUSED_PAD src0_sel:DWORD src1_sel:WORD_1
	v_fma_f16 v21, v65, v21, -v40
	v_mul_f16_sdwa v40, v68, v22 dst_sel:DWORD dst_unused:UNUSED_PAD src0_sel:DWORD src1_sel:WORD_1
	v_fma_f16 v40, v47, v22, v40
	v_mul_f16_sdwa v47, v47, v22 dst_sel:DWORD dst_unused:UNUSED_PAD src0_sel:DWORD src1_sel:WORD_1
	v_add_f16_e32 v50, v14, v69
	v_fma_f16 v22, v68, v22, -v47
	v_add_f16_e32 v47, v41, v14
	v_fma_f16 v41, v50, -0.5, v41
	v_sub_f16_e32 v50, v66, v17
	v_fma_f16 v51, v50, s0, v41
	v_fma_f16 v41, v50, s1, v41
	v_add_f16_e32 v50, v48, v66
	v_add_f16_e32 v50, v50, v17
	;; [unrolled: 1-line block ×3, first 2 shown]
	v_fma_f16 v17, v17, -0.5, v48
	v_sub_f16_e32 v14, v14, v69
	v_add_f16_e32 v53, v49, v23
	v_fma_f16 v48, v14, s1, v17
	v_fma_f16 v14, v14, s0, v17
	v_add_f16_e32 v17, v45, v49
	v_fma_f16 v45, v53, -0.5, v45
	v_sub_f16_e32 v53, v7, v8
	v_fma_f16 v54, v53, s0, v45
	v_fma_f16 v45, v53, s1, v45
	v_add_f16_e32 v53, v67, v7
	v_add_f16_e32 v7, v7, v8
	;; [unrolled: 1-line block ×4, first 2 shown]
	v_fma_f16 v7, v7, -0.5, v67
	v_sub_f16_e32 v8, v49, v23
	v_add_f16_e32 v49, v18, v24
	v_fma_f16 v23, v8, s1, v7
	v_fma_f16 v7, v8, s0, v7
	v_add_f16_e32 v8, v25, v18
	v_fma_f16 v25, v49, -0.5, v25
	v_sub_f16_e32 v49, v9, v10
	v_pack_b32_f16 v14, v41, v14
	v_pack_b32_f16 v17, v17, v53
	v_fma_f16 v56, v49, s0, v25
	v_fma_f16 v25, v49, s1, v25
	v_add_f16_e32 v49, v52, v9
	v_add_f16_e32 v9, v9, v10
	ds_write2_b32 v1, v14, v17 offset0:26 offset1:39
	v_pack_b32_f16 v14, v54, v23
	v_pack_b32_f16 v7, v45, v7
	v_add_f16_e32 v8, v8, v24
	v_add_f16_e32 v49, v49, v10
	v_fma_f16 v9, v9, -0.5, v52
	v_sub_f16_e32 v10, v18, v24
	v_add_f16_e32 v24, v31, v33
	ds_write2_b32 v1, v14, v7 offset0:52 offset1:65
	v_mov_b32_e32 v7, 2
	v_fma_f16 v18, v10, s1, v9
	v_fma_f16 v9, v10, s0, v9
	v_add_f16_e32 v10, v26, v31
	v_fma_f16 v24, v24, -0.5, v26
	v_sub_f16_e32 v26, v11, v12
	v_lshlrev_b32_sdwa v4, v7, v4 dst_sel:DWORD dst_unused:UNUSED_PAD src0_sel:DWORD src1_sel:BYTE_0
	v_fma_f16 v52, v26, s0, v24
	v_fma_f16 v24, v26, s1, v24
	v_add_f16_e32 v26, v55, v11
	v_add_f16_e32 v11, v11, v12
	v_add3_u32 v4, 0, v4, v30
	v_pack_b32_f16 v8, v8, v49
	v_pack_b32_f16 v14, v56, v18
	v_add_f16_e32 v10, v10, v33
	v_add_f16_e32 v26, v26, v12
	v_fma_f16 v11, v11, -0.5, v55
	v_sub_f16_e32 v12, v31, v33
	v_add_f16_e32 v33, v32, v34
	ds_write2_b32 v4, v8, v14 offset0:78 offset1:91
	v_pack_b32_f16 v8, v25, v9
	v_fma_f16 v31, v12, s1, v11
	v_fma_f16 v11, v12, s0, v11
	v_add_f16_e32 v12, v35, v32
	v_fma_f16 v33, v33, -0.5, v35
	v_sub_f16_e32 v35, v15, v16
	ds_write_b32 v4, v8 offset:416
	v_lshlrev_b32_sdwa v4, v7, v42 dst_sel:DWORD dst_unused:UNUSED_PAD src0_sel:DWORD src1_sel:BYTE_0
	v_fma_f16 v55, v35, s0, v33
	v_fma_f16 v33, v35, s1, v33
	v_add_f16_e32 v35, v58, v15
	v_add_f16_e32 v15, v15, v16
	v_add3_u32 v4, 0, v4, v30
	v_pack_b32_f16 v8, v10, v26
	v_pack_b32_f16 v9, v52, v31
	v_add_f16_e32 v12, v12, v34
	v_add_f16_e32 v35, v35, v16
	v_fma_f16 v15, v15, -0.5, v58
	v_sub_f16_e32 v16, v32, v34
	v_add_f16_e32 v34, v37, v39
	ds_write2_b32 v4, v8, v9 offset0:117 offset1:130
	v_pack_b32_f16 v8, v24, v11
	v_fma_f16 v32, v16, s1, v15
	v_fma_f16 v15, v16, s0, v15
	v_add_f16_e32 v16, v36, v37
	v_fma_f16 v34, v34, -0.5, v36
	v_sub_f16_e32 v36, v19, v20
	ds_write_b32 v4, v8 offset:572
	;; [unrolled: 21-line block ×3, first 2 shown]
	v_lshlrev_b32_sdwa v4, v7, v44 dst_sel:DWORD dst_unused:UNUSED_PAD src0_sel:DWORD src1_sel:BYTE_0
	v_fma_f16 v58, v39, s0, v13
	v_fma_f16 v13, v39, s1, v13
	v_add_f16_e32 v39, v64, v21
	v_add_f16_e32 v21, v21, v22
	v_add3_u32 v4, 0, v4, v30
	v_pack_b32_f16 v8, v16, v36
	v_pack_b32_f16 v9, v57, v37
	v_add_f16_e32 v39, v39, v22
	v_fma_f16 v21, v21, -0.5, v64
	v_sub_f16_e32 v22, v38, v40
	ds_write2_b32 v4, v8, v9 offset0:195 offset1:208
	v_pack_b32_f16 v8, v34, v19
	v_add_f16_e32 v20, v20, v40
	v_fma_f16 v38, v22, s1, v21
	ds_write_b32 v4, v8 offset:884
	v_lshlrev_b32_sdwa v4, v7, v46 dst_sel:DWORD dst_unused:UNUSED_PAD src0_sel:DWORD src1_sel:BYTE_0
	v_fma_f16 v21, v22, s0, v21
	v_add3_u32 v4, 0, v4, v30
	v_pack_b32_f16 v7, v20, v39
	v_pack_b32_f16 v8, v58, v38
	ds_write2_b32 v4, v7, v8 offset0:234 offset1:247
	v_pack_b32_f16 v7, v13, v21
	v_add_f16_e32 v47, v47, v69
	ds_write_b32 v4, v7 offset:1040
	v_mul_u32_u24_e32 v4, 6, v0
	v_pack_b32_f16 v22, v47, v50
	v_pack_b32_f16 v40, v51, v48
	v_lshlrev_b32_e32 v43, 2, v4
	ds_write2_b32 v1, v22, v40 offset1:13
	s_waitcnt lgkmcnt(0)
	; wave barrier
	s_waitcnt lgkmcnt(0)
	global_load_dwordx4 v[7:10], v43, s[8:9] offset:104
	global_load_dwordx2 v[19:20], v43, s[8:9] offset:120
	v_mul_i32_i24_e32 v4, 6, v29
	v_lshlrev_b64 v[11:12], 2, v[4:5]
	v_add_co_u32_e64 v21, s[0:1], s8, v11
	v_addc_co_u32_e64 v22, s[0:1], v27, v12, s[0:1]
	global_load_dwordx4 v[11:14], v[21:22], off offset:104
	global_load_dwordx2 v[23:24], v[21:22], off offset:120
	global_load_dwordx4 v[15:18], v43, s[8:9] offset:728
	ds_read_b32 v4, v28
	ds_read2_b32 v[21:22], v1 offset0:26 offset1:39
	ds_read2_b32 v[25:26], v1 offset0:78 offset1:91
	ds_read2_b32 v[29:30], v1 offset0:182 offset1:195
	ds_read2_b32 v[31:32], v1 offset0:104 offset1:117
	ds_read2_b32 v[33:34], v1 offset0:234 offset1:247
	ds_read2_b32 v[35:36], v1 offset0:52 offset1:65
	ds_read2_b32 v[37:38], v1 offset0:156 offset1:169
	global_load_dwordx2 v[43:44], v43, s[8:9] offset:744
	s_waitcnt lgkmcnt(6)
	v_lshrrev_b32_e32 v60, 16, v22
	s_waitcnt lgkmcnt(4)
	v_lshrrev_b32_e32 v27, 16, v30
	ds_read2_b32 v[39:40], v1 offset0:130 offset1:143
	s_waitcnt lgkmcnt(3)
	v_lshrrev_b32_e32 v45, 16, v33
	s_waitcnt lgkmcnt(2)
	v_lshrrev_b32_e32 v46, 16, v35
	ds_read2_b32 v[41:42], v1 offset0:208 offset1:221
	v_lshrrev_b32_e32 v47, 16, v26
	s_waitcnt lgkmcnt(1)
	v_lshrrev_b32_e32 v48, 16, v39
	v_lshrrev_b32_e32 v49, 16, v38
	;; [unrolled: 1-line block ×3, first 2 shown]
	s_waitcnt lgkmcnt(0)
	v_lshrrev_b32_e32 v50, 16, v41
	v_lshrrev_b32_e32 v52, 16, v36
	;; [unrolled: 1-line block ×3, first 2 shown]
	ds_read_b32 v53, v6
	ds_read_b32 v54, v1 offset:1040
	v_lshrrev_b32_e32 v56, 16, v40
	v_lshrrev_b32_e32 v57, 16, v29
	;; [unrolled: 1-line block ×3, first 2 shown]
	s_movk_i32 s0, 0x2b26
	s_waitcnt lgkmcnt(0)
	v_lshrrev_b32_e32 v59, 16, v54
	s_mov_b32 s1, 0xbb00
	s_movk_i32 s8, 0x3574
	s_mov_b32 s9, 0xb70e
	s_waitcnt lgkmcnt(0)
	; wave barrier
	s_waitcnt vmcnt(5)
	v_mul_f16_sdwa v61, v7, v60 dst_sel:DWORD dst_unused:UNUSED_PAD src0_sel:WORD_1 src1_sel:DWORD
	v_fma_f16 v61, v7, v22, v61
	v_mul_f16_sdwa v22, v7, v22 dst_sel:DWORD dst_unused:UNUSED_PAD src0_sel:WORD_1 src1_sel:DWORD
	v_fma_f16 v7, v7, v60, -v22
	v_lshrrev_b32_e32 v22, 16, v25
	v_mul_f16_sdwa v60, v8, v22 dst_sel:DWORD dst_unused:UNUSED_PAD src0_sel:WORD_1 src1_sel:DWORD
	v_fma_f16 v60, v8, v25, v60
	v_mul_f16_sdwa v25, v8, v25 dst_sel:DWORD dst_unused:UNUSED_PAD src0_sel:WORD_1 src1_sel:DWORD
	v_fma_f16 v8, v8, v22, -v25
	v_lshrrev_b32_e32 v22, 16, v32
	;; [unrolled: 5-line block ×3, first 2 shown]
	v_mul_f16_sdwa v32, v10, v22 dst_sel:DWORD dst_unused:UNUSED_PAD src0_sel:WORD_1 src1_sel:DWORD
	v_fma_f16 v32, v10, v37, v32
	v_mul_f16_sdwa v37, v10, v37 dst_sel:DWORD dst_unused:UNUSED_PAD src0_sel:WORD_1 src1_sel:DWORD
	v_fma_f16 v10, v10, v22, -v37
	s_waitcnt vmcnt(4)
	v_mul_f16_sdwa v22, v27, v19 dst_sel:DWORD dst_unused:UNUSED_PAD src0_sel:DWORD src1_sel:WORD_1
	v_fma_f16 v22, v30, v19, v22
	v_mul_f16_sdwa v30, v30, v19 dst_sel:DWORD dst_unused:UNUSED_PAD src0_sel:DWORD src1_sel:WORD_1
	v_fma_f16 v19, v27, v19, -v30
	v_mul_f16_sdwa v27, v45, v20 dst_sel:DWORD dst_unused:UNUSED_PAD src0_sel:DWORD src1_sel:WORD_1
	v_mul_f16_sdwa v30, v33, v20 dst_sel:DWORD dst_unused:UNUSED_PAD src0_sel:DWORD src1_sel:WORD_1
	v_fma_f16 v27, v33, v20, v27
	v_fma_f16 v20, v45, v20, -v30
	s_waitcnt vmcnt(3)
	v_mul_f16_sdwa v30, v46, v11 dst_sel:DWORD dst_unused:UNUSED_PAD src0_sel:DWORD src1_sel:WORD_1
	v_mul_f16_sdwa v33, v35, v11 dst_sel:DWORD dst_unused:UNUSED_PAD src0_sel:DWORD src1_sel:WORD_1
	v_fma_f16 v30, v35, v11, v30
	v_fma_f16 v11, v46, v11, -v33
	v_mul_f16_sdwa v33, v47, v12 dst_sel:DWORD dst_unused:UNUSED_PAD src0_sel:DWORD src1_sel:WORD_1
	v_fma_f16 v33, v26, v12, v33
	v_mul_f16_sdwa v26, v26, v12 dst_sel:DWORD dst_unused:UNUSED_PAD src0_sel:DWORD src1_sel:WORD_1
	v_fma_f16 v12, v47, v12, -v26
	v_mul_f16_sdwa v26, v48, v13 dst_sel:DWORD dst_unused:UNUSED_PAD src0_sel:DWORD src1_sel:WORD_1
	v_mul_f16_sdwa v35, v39, v13 dst_sel:DWORD dst_unused:UNUSED_PAD src0_sel:DWORD src1_sel:WORD_1
	v_fma_f16 v26, v39, v13, v26
	v_fma_f16 v13, v48, v13, -v35
	v_mul_f16_sdwa v35, v49, v14 dst_sel:DWORD dst_unused:UNUSED_PAD src0_sel:DWORD src1_sel:WORD_1
	v_mul_f16_sdwa v37, v38, v14 dst_sel:DWORD dst_unused:UNUSED_PAD src0_sel:DWORD src1_sel:WORD_1
	v_fma_f16 v35, v38, v14, v35
	v_fma_f16 v14, v49, v14, -v37
	s_waitcnt vmcnt(2)
	v_mul_f16_sdwa v37, v50, v23 dst_sel:DWORD dst_unused:UNUSED_PAD src0_sel:DWORD src1_sel:WORD_1
	v_mul_f16_sdwa v38, v41, v23 dst_sel:DWORD dst_unused:UNUSED_PAD src0_sel:DWORD src1_sel:WORD_1
	v_fma_f16 v37, v41, v23, v37
	v_fma_f16 v23, v50, v23, -v38
	v_mul_f16_sdwa v38, v51, v24 dst_sel:DWORD dst_unused:UNUSED_PAD src0_sel:DWORD src1_sel:WORD_1
	v_fma_f16 v38, v34, v24, v38
	v_mul_f16_sdwa v34, v34, v24 dst_sel:DWORD dst_unused:UNUSED_PAD src0_sel:DWORD src1_sel:WORD_1
	v_fma_f16 v24, v51, v24, -v34
	s_waitcnt vmcnt(1)
	v_mul_f16_sdwa v34, v52, v15 dst_sel:DWORD dst_unused:UNUSED_PAD src0_sel:DWORD src1_sel:WORD_1
	v_fma_f16 v34, v36, v15, v34
	v_mul_f16_sdwa v36, v36, v15 dst_sel:DWORD dst_unused:UNUSED_PAD src0_sel:DWORD src1_sel:WORD_1
	v_fma_f16 v15, v52, v15, -v36
	v_mul_f16_sdwa v36, v55, v16 dst_sel:DWORD dst_unused:UNUSED_PAD src0_sel:DWORD src1_sel:WORD_1
	v_fma_f16 v36, v31, v16, v36
	v_mul_f16_sdwa v31, v31, v16 dst_sel:DWORD dst_unused:UNUSED_PAD src0_sel:DWORD src1_sel:WORD_1
	v_fma_f16 v16, v55, v16, -v31
	v_mul_f16_sdwa v31, v56, v17 dst_sel:DWORD dst_unused:UNUSED_PAD src0_sel:DWORD src1_sel:WORD_1
	v_mul_f16_sdwa v39, v40, v17 dst_sel:DWORD dst_unused:UNUSED_PAD src0_sel:DWORD src1_sel:WORD_1
	v_fma_f16 v31, v40, v17, v31
	v_fma_f16 v17, v56, v17, -v39
	v_mul_f16_sdwa v39, v57, v18 dst_sel:DWORD dst_unused:UNUSED_PAD src0_sel:DWORD src1_sel:WORD_1
	v_fma_f16 v39, v29, v18, v39
	v_mul_f16_sdwa v29, v29, v18 dst_sel:DWORD dst_unused:UNUSED_PAD src0_sel:DWORD src1_sel:WORD_1
	v_fma_f16 v18, v57, v18, -v29
	s_waitcnt vmcnt(0)
	v_mul_f16_sdwa v29, v58, v43 dst_sel:DWORD dst_unused:UNUSED_PAD src0_sel:DWORD src1_sel:WORD_1
	v_fma_f16 v29, v42, v43, v29
	v_mul_f16_sdwa v40, v42, v43 dst_sel:DWORD dst_unused:UNUSED_PAD src0_sel:DWORD src1_sel:WORD_1
	v_mul_f16_sdwa v41, v59, v44 dst_sel:DWORD dst_unused:UNUSED_PAD src0_sel:DWORD src1_sel:WORD_1
	;; [unrolled: 1-line block ×3, first 2 shown]
	v_fma_f16 v40, v58, v43, -v40
	v_fma_f16 v41, v54, v44, v41
	v_fma_f16 v42, v59, v44, -v42
	v_add_f16_e32 v43, v61, v27
	v_add_f16_e32 v44, v7, v20
	v_sub_f16_e32 v7, v7, v20
	v_add_f16_e32 v20, v60, v22
	v_add_f16_e32 v45, v8, v19
	v_sub_f16_e32 v27, v61, v27
	v_sub_f16_e32 v22, v60, v22
	;; [unrolled: 1-line block ×3, first 2 shown]
	v_add_f16_e32 v19, v25, v32
	v_add_f16_e32 v46, v9, v10
	v_sub_f16_e32 v25, v32, v25
	v_sub_f16_e32 v9, v10, v9
	v_add_f16_e32 v10, v20, v43
	v_add_f16_e32 v32, v45, v44
	v_sub_f16_e32 v47, v20, v43
	v_sub_f16_e32 v48, v45, v44
	;; [unrolled: 1-line block ×6, first 2 shown]
	v_add_f16_e32 v49, v25, v22
	v_add_f16_e32 v50, v9, v8
	v_sub_f16_e32 v51, v25, v22
	v_sub_f16_e32 v52, v9, v8
	;; [unrolled: 1-line block ×4, first 2 shown]
	v_add_f16_e32 v10, v19, v10
	v_add_f16_e32 v19, v46, v32
	v_sub_f16_e32 v25, v27, v25
	v_sub_f16_e32 v9, v7, v9
	v_add_f16_e32 v27, v49, v27
	v_add_f16_e32 v7, v50, v7
	;; [unrolled: 1-line block ×3, first 2 shown]
	v_add_f16_sdwa v4, v19, v4 dst_sel:DWORD dst_unused:UNUSED_PAD src0_sel:DWORD src1_sel:WORD_1
	v_mul_f16_e32 v43, 0x3a52, v43
	v_mul_f16_e32 v44, 0x3a52, v44
	;; [unrolled: 1-line block ×8, first 2 shown]
	v_fma_f16 v10, v10, s4, v32
	v_fma_f16 v19, v19, s4, v4
	;; [unrolled: 1-line block ×4, first 2 shown]
	v_fma_f16 v46, v47, s5, -v46
	v_fma_f16 v49, v48, s5, -v49
	;; [unrolled: 1-line block ×4, first 2 shown]
	v_fma_f16 v47, v25, s7, v50
	v_fma_f16 v48, v9, s7, v51
	v_fma_f16 v8, v8, s1, -v51
	v_fma_f16 v25, v25, s8, -v52
	;; [unrolled: 1-line block ×4, first 2 shown]
	v_add_f16_e32 v20, v20, v10
	v_add_f16_e32 v45, v45, v19
	;; [unrolled: 1-line block ×6, first 2 shown]
	v_fma_f16 v43, v27, s9, v47
	v_fma_f16 v44, v7, s9, v48
	;; [unrolled: 1-line block ×6, first 2 shown]
	v_add_f16_e32 v9, v44, v20
	v_sub_f16_e32 v27, v45, v43
	v_add_f16_e32 v47, v7, v10
	v_sub_f16_e32 v48, v19, v25
	v_sub_f16_e32 v7, v10, v7
	v_add_f16_e32 v10, v25, v19
	v_sub_f16_e32 v19, v20, v44
	v_add_f16_e32 v20, v43, v45
	v_add_f16_e32 v25, v30, v38
	;; [unrolled: 1-line block ×3, first 2 shown]
	v_sub_f16_e32 v30, v30, v38
	v_sub_f16_e32 v11, v11, v24
	v_add_f16_e32 v24, v33, v37
	v_add_f16_e32 v38, v12, v23
	v_sub_f16_e32 v33, v33, v37
	v_sub_f16_e32 v12, v12, v23
	v_add_f16_e32 v23, v26, v35
	v_add_f16_e32 v37, v13, v14
	;; [unrolled: 4-line block ×3, first 2 shown]
	v_pack_b32_f16 v4, v32, v4
	v_sub_f16_e32 v50, v46, v8
	v_add_f16_e32 v51, v22, v49
	v_add_f16_e32 v8, v8, v46
	v_sub_f16_e32 v22, v49, v22
	v_sub_f16_e32 v44, v24, v25
	;; [unrolled: 1-line block ×7, first 2 shown]
	v_add_f16_e32 v46, v26, v33
	v_add_f16_e32 v49, v13, v12
	v_sub_f16_e32 v52, v26, v33
	v_sub_f16_e32 v54, v13, v12
	;; [unrolled: 1-line block ×4, first 2 shown]
	v_add_f16_e32 v14, v23, v14
	v_add_f16_e32 v23, v37, v35
	ds_write_b32 v1, v4
	v_pack_b32_f16 v4, v9, v27
	v_sub_f16_e32 v26, v30, v26
	v_sub_f16_e32 v13, v11, v13
	v_add_f16_e32 v30, v46, v30
	v_add_f16_e32 v11, v49, v11
	;; [unrolled: 1-line block ×3, first 2 shown]
	v_add_f16_sdwa v37, v23, v53 dst_sel:DWORD dst_unused:UNUSED_PAD src0_sel:DWORD src1_sel:WORD_1
	v_mul_f16_e32 v25, 0x3a52, v25
	v_mul_f16_e32 v43, 0x3a52, v43
	v_mul_f16_e32 v46, 0x2b26, v24
	v_mul_f16_e32 v49, 0x2b26, v38
	v_mul_f16_e32 v52, 0x3846, v52
	v_mul_f16_e32 v53, 0x3846, v54
	v_mul_f16_e32 v54, 0xbb00, v33
	v_mul_f16_e32 v55, 0xbb00, v12
	ds_write_b32 v1, v4 offset:156
	v_pack_b32_f16 v4, v47, v48
	v_fma_f16 v14, v14, s4, v35
	v_fma_f16 v23, v23, s4, v37
	v_fma_f16 v24, v24, s0, v25
	v_fma_f16 v38, v38, s0, v43
	v_fma_f16 v46, v44, s5, -v46
	v_fma_f16 v49, v45, s5, -v49
	v_fma_f16 v25, v44, s6, -v25
	v_fma_f16 v43, v45, s6, -v43
	v_fma_f16 v44, v26, s7, v52
	v_fma_f16 v45, v13, s7, v53
	v_fma_f16 v12, v12, s1, -v53
	v_fma_f16 v26, v26, s8, -v54
	;; [unrolled: 1-line block ×3, first 2 shown]
	ds_write_b32 v1, v4 offset:312
	v_pack_b32_f16 v4, v50, v51
	v_fma_f16 v33, v33, s1, -v52
	v_add_f16_e32 v24, v24, v14
	v_add_f16_e32 v38, v38, v23
	;; [unrolled: 1-line block ×6, first 2 shown]
	v_fma_f16 v25, v30, s9, v44
	v_fma_f16 v43, v11, s9, v45
	;; [unrolled: 1-line block ×5, first 2 shown]
	ds_write_b32 v1, v4 offset:468
	v_pack_b32_f16 v4, v8, v22
	v_fma_f16 v33, v30, s9, v33
	v_add_f16_e32 v13, v43, v24
	v_sub_f16_e32 v30, v38, v25
	v_add_f16_e32 v44, v11, v14
	v_sub_f16_e32 v45, v23, v26
	v_sub_f16_e32 v11, v14, v11
	v_add_f16_e32 v14, v26, v23
	v_sub_f16_e32 v23, v24, v43
	v_add_f16_e32 v24, v25, v38
	v_add_f16_e32 v25, v34, v41
	v_add_f16_e32 v26, v15, v42
	v_sub_f16_e32 v34, v34, v41
	v_add_f16_e32 v38, v36, v29
	v_add_f16_e32 v41, v16, v40
	ds_write_b32 v1, v4 offset:624
	v_pack_b32_f16 v4, v7, v10
	v_sub_f16_e32 v29, v36, v29
	v_sub_f16_e32 v16, v16, v40
	v_add_f16_e32 v36, v31, v39
	v_add_f16_e32 v40, v17, v18
	v_sub_f16_e32 v31, v39, v31
	v_sub_f16_e32 v17, v18, v17
	v_add_f16_e32 v18, v38, v25
	v_add_f16_e32 v39, v41, v26
	ds_write_b32 v1, v4 offset:780
	v_pack_b32_f16 v4, v19, v20
	v_sub_f16_e32 v52, v46, v12
	v_add_f16_e32 v53, v33, v49
	v_add_f16_e32 v12, v12, v46
	v_sub_f16_e32 v33, v49, v33
	v_sub_f16_e32 v15, v15, v42
	;; [unrolled: 1-line block ×8, first 2 shown]
	v_add_f16_e32 v46, v31, v29
	v_add_f16_e32 v49, v17, v16
	v_sub_f16_e32 v54, v31, v29
	v_sub_f16_e32 v55, v17, v16
	v_add_f16_e32 v18, v36, v18
	v_add_f16_e32 v36, v40, v39
	ds_write_b32 v1, v4 offset:936
	v_pack_b32_f16 v4, v35, v37
	v_pack_b32_f16 v7, v13, v30
	v_sub_f16_e32 v31, v34, v31
	v_sub_f16_e32 v17, v15, v17
	;; [unrolled: 1-line block ×4, first 2 shown]
	v_add_f16_e32 v34, v46, v34
	v_add_f16_e32 v15, v49, v15
	;; [unrolled: 1-line block ×3, first 2 shown]
	v_add_f16_sdwa v21, v36, v21 dst_sel:DWORD dst_unused:UNUSED_PAD src0_sel:DWORD src1_sel:WORD_1
	v_mul_f16_e32 v25, 0x3a52, v25
	v_mul_f16_e32 v26, 0x3a52, v26
	;; [unrolled: 1-line block ×6, first 2 shown]
	ds_write2_b32 v6, v4, v7 offset1:39
	v_pack_b32_f16 v4, v44, v45
	v_pack_b32_f16 v7, v52, v53
	v_mul_f16_e32 v55, 0xbb00, v29
	v_mul_f16_e32 v56, 0xbb00, v16
	v_fma_f16 v18, v18, s4, v39
	v_fma_f16 v36, v36, s4, v21
	;; [unrolled: 1-line block ×4, first 2 shown]
	v_fma_f16 v40, v42, s5, -v40
	v_fma_f16 v46, v43, s5, -v46
	v_fma_f16 v25, v42, s6, -v25
	v_fma_f16 v26, v43, s6, -v26
	v_fma_f16 v42, v31, s7, v49
	v_fma_f16 v43, v17, s7, v54
	ds_write2_b32 v6, v4, v7 offset0:78 offset1:117
	v_pack_b32_f16 v4, v12, v33
	v_pack_b32_f16 v7, v11, v14
	v_fma_f16 v29, v29, s1, -v49
	v_fma_f16 v16, v16, s1, -v54
	;; [unrolled: 1-line block ×4, first 2 shown]
	v_add_f16_e32 v38, v38, v18
	v_add_f16_e32 v41, v41, v36
	;; [unrolled: 1-line block ×6, first 2 shown]
	v_fma_f16 v26, v34, s9, v42
	v_fma_f16 v36, v15, s9, v43
	ds_write2_b32 v6, v4, v7 offset0:156 offset1:195
	v_pack_b32_f16 v4, v23, v24
	v_fma_f16 v29, v34, s9, v29
	v_fma_f16 v16, v15, s9, v16
	;; [unrolled: 1-line block ×4, first 2 shown]
	v_add_f16_e32 v17, v36, v38
	v_sub_f16_e32 v34, v41, v26
	ds_write_b32 v6, v4 offset:936
	v_pack_b32_f16 v4, v39, v21
	v_add_f16_e32 v42, v15, v18
	v_sub_f16_e32 v43, v25, v31
	ds_write_b32 v1, v4 offset:104
	v_pack_b32_f16 v4, v17, v34
	v_sub_f16_e32 v49, v40, v16
	v_add_f16_e32 v54, v29, v46
	ds_write_b32 v1, v4 offset:260
	v_pack_b32_f16 v4, v42, v43
	v_add_f16_e32 v16, v16, v40
	v_sub_f16_e32 v29, v46, v29
	ds_write_b32 v1, v4 offset:416
	v_pack_b32_f16 v4, v49, v54
	v_sub_f16_e32 v15, v18, v15
	v_add_f16_e32 v18, v31, v25
	ds_write_b32 v1, v4 offset:572
	v_pack_b32_f16 v4, v16, v29
	v_sub_f16_e32 v25, v38, v36
	v_add_f16_e32 v26, v26, v41
	ds_write_b32 v1, v4 offset:728
	v_pack_b32_f16 v4, v15, v18
	ds_write_b32 v1, v4 offset:884
	v_pack_b32_f16 v4, v25, v26
	ds_write_b32 v1, v4 offset:1040
	s_waitcnt lgkmcnt(0)
	; wave barrier
	s_waitcnt lgkmcnt(0)
	s_and_saveexec_b64 s[0:1], vcc
	s_cbranch_execz .LBB0_17
; %bb.16:
	v_mov_b32_e32 v1, v5
	v_mov_b32_e32 v4, s3
	v_add_co_u32_e32 v6, vcc, s2, v2
	v_lshlrev_b64 v[0:1], 2, v[0:1]
	v_addc_co_u32_e32 v7, vcc, v4, v3, vcc
	ds_read2_b32 v[2:3], v28 offset1:13
	ds_read2_b32 v[4:5], v28 offset0:26 offset1:39
	v_add_co_u32_e32 v0, vcc, v6, v0
	v_addc_co_u32_e32 v1, vcc, v7, v1, vcc
	ds_read2_b32 v[6:7], v28 offset0:52 offset1:65
	s_waitcnt lgkmcnt(2)
	global_store_dword v[0:1], v2, off
	global_store_dword v[0:1], v3, off offset:52
	s_waitcnt lgkmcnt(1)
	global_store_dword v[0:1], v4, off offset:104
	ds_read2_b32 v[2:3], v28 offset0:78 offset1:91
	global_store_dword v[0:1], v5, off offset:156
	s_waitcnt lgkmcnt(1)
	global_store_dword v[0:1], v6, off offset:208
	ds_read2_b32 v[4:5], v28 offset0:104 offset1:117
	;; [unrolled: 4-line block ×5, first 2 shown]
	global_store_dword v[0:1], v7, off offset:572
	s_waitcnt lgkmcnt(1)
	global_store_dword v[0:1], v2, off offset:624
	global_store_dword v[0:1], v3, off offset:676
	ds_read2_b32 v[2:3], v28 offset0:208 offset1:221
	ds_read2_b32 v[6:7], v28 offset0:234 offset1:247
	s_waitcnt lgkmcnt(2)
	global_store_dword v[0:1], v4, off offset:728
	ds_read_b32 v4, v28 offset:1040
	global_store_dword v[0:1], v5, off offset:780
	s_waitcnt lgkmcnt(2)
	global_store_dword v[0:1], v2, off offset:832
	global_store_dword v[0:1], v3, off offset:884
	s_waitcnt lgkmcnt(1)
	global_store_dword v[0:1], v6, off offset:936
	;; [unrolled: 3-line block ×3, first 2 shown]
.LBB0_17:
	s_endpgm
	.section	.rodata,"a",@progbits
	.p2align	6, 0x0
	.amdhsa_kernel fft_rtc_back_len273_factors_13_3_7_wgs_52_tpt_13_half_ip_CI_unitstride_sbrr_dirReg
		.amdhsa_group_segment_fixed_size 0
		.amdhsa_private_segment_fixed_size 0
		.amdhsa_kernarg_size 88
		.amdhsa_user_sgpr_count 6
		.amdhsa_user_sgpr_private_segment_buffer 1
		.amdhsa_user_sgpr_dispatch_ptr 0
		.amdhsa_user_sgpr_queue_ptr 0
		.amdhsa_user_sgpr_kernarg_segment_ptr 1
		.amdhsa_user_sgpr_dispatch_id 0
		.amdhsa_user_sgpr_flat_scratch_init 0
		.amdhsa_user_sgpr_private_segment_size 0
		.amdhsa_uses_dynamic_stack 0
		.amdhsa_system_sgpr_private_segment_wavefront_offset 0
		.amdhsa_system_sgpr_workgroup_id_x 1
		.amdhsa_system_sgpr_workgroup_id_y 0
		.amdhsa_system_sgpr_workgroup_id_z 0
		.amdhsa_system_sgpr_workgroup_info 0
		.amdhsa_system_vgpr_workitem_id 0
		.amdhsa_next_free_vgpr 91
		.amdhsa_next_free_sgpr 27
		.amdhsa_reserve_vcc 1
		.amdhsa_reserve_flat_scratch 0
		.amdhsa_float_round_mode_32 0
		.amdhsa_float_round_mode_16_64 0
		.amdhsa_float_denorm_mode_32 3
		.amdhsa_float_denorm_mode_16_64 3
		.amdhsa_dx10_clamp 1
		.amdhsa_ieee_mode 1
		.amdhsa_fp16_overflow 0
		.amdhsa_exception_fp_ieee_invalid_op 0
		.amdhsa_exception_fp_denorm_src 0
		.amdhsa_exception_fp_ieee_div_zero 0
		.amdhsa_exception_fp_ieee_overflow 0
		.amdhsa_exception_fp_ieee_underflow 0
		.amdhsa_exception_fp_ieee_inexact 0
		.amdhsa_exception_int_div_zero 0
	.end_amdhsa_kernel
	.text
.Lfunc_end0:
	.size	fft_rtc_back_len273_factors_13_3_7_wgs_52_tpt_13_half_ip_CI_unitstride_sbrr_dirReg, .Lfunc_end0-fft_rtc_back_len273_factors_13_3_7_wgs_52_tpt_13_half_ip_CI_unitstride_sbrr_dirReg
                                        ; -- End function
	.section	.AMDGPU.csdata,"",@progbits
; Kernel info:
; codeLenInByte = 11800
; NumSgprs: 31
; NumVgprs: 91
; ScratchSize: 0
; MemoryBound: 0
; FloatMode: 240
; IeeeMode: 1
; LDSByteSize: 0 bytes/workgroup (compile time only)
; SGPRBlocks: 3
; VGPRBlocks: 22
; NumSGPRsForWavesPerEU: 31
; NumVGPRsForWavesPerEU: 91
; Occupancy: 2
; WaveLimiterHint : 1
; COMPUTE_PGM_RSRC2:SCRATCH_EN: 0
; COMPUTE_PGM_RSRC2:USER_SGPR: 6
; COMPUTE_PGM_RSRC2:TRAP_HANDLER: 0
; COMPUTE_PGM_RSRC2:TGID_X_EN: 1
; COMPUTE_PGM_RSRC2:TGID_Y_EN: 0
; COMPUTE_PGM_RSRC2:TGID_Z_EN: 0
; COMPUTE_PGM_RSRC2:TIDIG_COMP_CNT: 0
	.type	__hip_cuid_83d3bda561fd4145,@object ; @__hip_cuid_83d3bda561fd4145
	.section	.bss,"aw",@nobits
	.globl	__hip_cuid_83d3bda561fd4145
__hip_cuid_83d3bda561fd4145:
	.byte	0                               ; 0x0
	.size	__hip_cuid_83d3bda561fd4145, 1

	.ident	"AMD clang version 19.0.0git (https://github.com/RadeonOpenCompute/llvm-project roc-6.4.0 25133 c7fe45cf4b819c5991fe208aaa96edf142730f1d)"
	.section	".note.GNU-stack","",@progbits
	.addrsig
	.addrsig_sym __hip_cuid_83d3bda561fd4145
	.amdgpu_metadata
---
amdhsa.kernels:
  - .args:
      - .actual_access:  read_only
        .address_space:  global
        .offset:         0
        .size:           8
        .value_kind:     global_buffer
      - .offset:         8
        .size:           8
        .value_kind:     by_value
      - .actual_access:  read_only
        .address_space:  global
        .offset:         16
        .size:           8
        .value_kind:     global_buffer
      - .actual_access:  read_only
        .address_space:  global
        .offset:         24
        .size:           8
        .value_kind:     global_buffer
      - .offset:         32
        .size:           8
        .value_kind:     by_value
      - .actual_access:  read_only
        .address_space:  global
        .offset:         40
        .size:           8
        .value_kind:     global_buffer
      - .actual_access:  read_only
        .address_space:  global
        .offset:         48
        .size:           8
        .value_kind:     global_buffer
      - .offset:         56
        .size:           4
        .value_kind:     by_value
      - .actual_access:  read_only
        .address_space:  global
        .offset:         64
        .size:           8
        .value_kind:     global_buffer
      - .actual_access:  read_only
        .address_space:  global
        .offset:         72
        .size:           8
        .value_kind:     global_buffer
      - .address_space:  global
        .offset:         80
        .size:           8
        .value_kind:     global_buffer
    .group_segment_fixed_size: 0
    .kernarg_segment_align: 8
    .kernarg_segment_size: 88
    .language:       OpenCL C
    .language_version:
      - 2
      - 0
    .max_flat_workgroup_size: 52
    .name:           fft_rtc_back_len273_factors_13_3_7_wgs_52_tpt_13_half_ip_CI_unitstride_sbrr_dirReg
    .private_segment_fixed_size: 0
    .sgpr_count:     31
    .sgpr_spill_count: 0
    .symbol:         fft_rtc_back_len273_factors_13_3_7_wgs_52_tpt_13_half_ip_CI_unitstride_sbrr_dirReg.kd
    .uniform_work_group_size: 1
    .uses_dynamic_stack: false
    .vgpr_count:     91
    .vgpr_spill_count: 0
    .wavefront_size: 64
amdhsa.target:   amdgcn-amd-amdhsa--gfx906
amdhsa.version:
  - 1
  - 2
...

	.end_amdgpu_metadata
